;; amdgpu-corpus repo=ROCm/rocFFT kind=compiled arch=gfx1030 opt=O3
	.text
	.amdgcn_target "amdgcn-amd-amdhsa--gfx1030"
	.amdhsa_code_object_version 6
	.protected	bluestein_single_fwd_len2000_dim1_dp_op_CI_CI ; -- Begin function bluestein_single_fwd_len2000_dim1_dp_op_CI_CI
	.globl	bluestein_single_fwd_len2000_dim1_dp_op_CI_CI
	.p2align	8
	.type	bluestein_single_fwd_len2000_dim1_dp_op_CI_CI,@function
bluestein_single_fwd_len2000_dim1_dp_op_CI_CI: ; @bluestein_single_fwd_len2000_dim1_dp_op_CI_CI
; %bb.0:
	s_load_dwordx4 s[8:11], s[4:5], 0x28
	v_mul_u32_u24_e32 v1, 0x20d, v0
	s_mov_b64 s[22:23], s[2:3]
	s_mov_b64 s[20:21], s[0:1]
	v_mov_b32_e32 v10, 0
	s_add_u32 s20, s20, s7
	v_lshrrev_b32_e32 v1, 16, v1
	s_addc_u32 s21, s21, 0
	s_mov_b32 s0, exec_lo
	v_add_nc_u32_e32 v9, s6, v1
	s_waitcnt lgkmcnt(0)
	v_cmpx_gt_u64_e64 s[8:9], v[9:10]
	s_cbranch_execz .LBB0_31
; %bb.1:
	s_clause 0x1
	s_load_dwordx4 s[0:3], s[4:5], 0x18
	s_load_dwordx2 s[6:7], s[4:5], 0x0
	v_mul_lo_u16 v1, 0x7d, v1
	v_sub_nc_u16 v2, v0, v1
	v_and_b32_e32 v212, 0xffff, v2
	v_lshlrev_b32_e32 v136, 4, v212
	s_waitcnt lgkmcnt(0)
	s_load_dwordx4 s[12:15], s[0:1], 0x0
	s_clause 0x1
	global_load_dwordx4 v[83:86], v136, s[6:7]
	global_load_dwordx4 v[107:110], v136, s[6:7] offset:2000
	v_add_co_u32 v137, s0, s6, v136
	v_add_co_ci_u32_e64 v138, null, s7, 0, s0
	v_add_co_u32 v0, vcc_lo, 0x1800, v137
	v_add_co_ci_u32_e32 v1, vcc_lo, 0, v138, vcc_lo
	v_add_co_u32 v14, vcc_lo, 0x3000, v137
	v_add_co_ci_u32_e32 v15, vcc_lo, 0, v138, vcc_lo
	global_load_dwordx4 v[91:94], v[0:1], off offset:256
	v_mov_b32_e32 v1, v9
	buffer_store_dword v1, off, s[20:23], 0 offset:40 ; 4-byte Folded Spill
	buffer_store_dword v2, off, s[20:23], 0 offset:44 ; 4-byte Folded Spill
	;; [unrolled: 1-line block ×4, first 2 shown]
	v_add_co_u32 v12, vcc_lo, 0x4800, v137
	v_add_co_ci_u32_e32 v13, vcc_lo, 0, v138, vcc_lo
	v_add_co_u32 v10, vcc_lo, 0x6000, v137
	v_add_co_ci_u32_e32 v11, vcc_lo, 0, v138, vcc_lo
	s_waitcnt lgkmcnt(0)
	v_mad_u64_u32 v[3:4], null, s14, v9, 0
	v_mad_u64_u32 v[7:8], null, s12, v212, 0
	v_add_co_u32 v5, vcc_lo, 0x2000, v137
	v_add_co_ci_u32_e32 v6, vcc_lo, 0, v138, vcc_lo
	v_add_co_u32 v35, vcc_lo, 0x3800, v137
	v_mov_b32_e32 v0, v8
	v_mad_u64_u32 v[8:9], null, s15, v9, v[4:5]
	v_add_co_ci_u32_e32 v36, vcc_lo, 0, v138, vcc_lo
	v_add_co_u32 v39, vcc_lo, 0x5000, v137
	v_add_co_ci_u32_e32 v40, vcc_lo, 0, v138, vcc_lo
	v_mov_b32_e32 v4, v8
	s_mul_i32 s1, s13, 0x190
	s_mul_hi_u32 s7, s12, 0x190
	s_mul_i32 s0, s12, 0x190
	s_mul_hi_u32 s9, s12, 0xfffffa3d
	s_add_i32 s1, s7, s1
	s_mul_i32 s8, s13, 0xfffffa3d
	s_mul_i32 s6, s12, 0xfffffa3d
	s_sub_i32 s7, s9, s12
	s_add_i32 s7, s7, s8
	v_mad_u64_u32 v[0:1], null, s13, v212, v[0:1]
	global_load_dwordx4 v[95:98], v[14:15], off offset:512
	buffer_store_dword v12, off, s[20:23], 0 offset:8 ; 4-byte Folded Spill
	buffer_store_dword v13, off, s[20:23], 0 offset:12 ; 4-byte Folded Spill
	s_lshl_b64 s[12:13], s[0:1], 4
	s_lshl_b64 s[0:1], s[6:7], 4
	v_mov_b32_e32 v8, v0
	v_lshlrev_b64 v[0:1], 4, v[3:4]
	v_lshlrev_b64 v[3:4], 4, v[7:8]
	v_add_co_u32 v0, vcc_lo, s10, v0
	v_add_co_ci_u32_e32 v1, vcc_lo, s11, v1, vcc_lo
	v_add_co_u32 v0, vcc_lo, v0, v3
	v_add_co_ci_u32_e32 v1, vcc_lo, v1, v4, vcc_lo
	;; [unrolled: 2-line block ×3, first 2 shown]
	global_load_dwordx4 v[87:90], v[12:13], off offset:768
	buffer_store_dword v10, off, s[20:23], 0 ; 4-byte Folded Spill
	buffer_store_dword v11, off, s[20:23], 0 offset:4 ; 4-byte Folded Spill
	s_clause 0x1
	global_load_dwordx4 v[127:130], v[10:11], off offset:1024
	global_load_dwordx4 v[115:118], v[5:6], off offset:208
	v_add_co_u32 v11, vcc_lo, v7, s12
	v_add_co_ci_u32_e32 v12, vcc_lo, s13, v8, vcc_lo
	s_clause 0x1
	global_load_dwordx4 v[3:6], v[0:1], off
	global_load_dwordx4 v[7:10], v[7:8], off
	v_add_co_u32 v15, vcc_lo, v11, s12
	v_add_co_ci_u32_e32 v16, vcc_lo, s13, v12, vcc_lo
	v_add_co_u32 v0, vcc_lo, v15, s12
	v_add_co_ci_u32_e32 v1, vcc_lo, s13, v16, vcc_lo
	s_clause 0x1
	global_load_dwordx4 v[11:14], v[11:12], off
	global_load_dwordx4 v[15:18], v[15:16], off
	v_add_co_u32 v23, vcc_lo, v0, s0
	v_add_co_ci_u32_e32 v24, vcc_lo, s1, v1, vcc_lo
	global_load_dwordx4 v[19:22], v[0:1], off
	v_add_co_u32 v0, vcc_lo, v23, s12
	v_add_co_ci_u32_e32 v1, vcc_lo, s13, v24, vcc_lo
	;; [unrolled: 3-line block ×5, first 2 shown]
	v_add_co_u32 v45, vcc_lo, 0x6800, v137
	v_add_co_ci_u32_e32 v46, vcc_lo, 0, v138, vcc_lo
	global_load_dwordx4 v[123:126], v[35:36], off offset:464
	global_load_dwordx4 v[35:38], v[0:1], off
	global_load_dwordx4 v[119:122], v[39:40], off offset:720
	global_load_dwordx4 v[39:42], v[43:44], off
	global_load_dwordx4 v[111:114], v[45:46], off offset:976
	v_add_co_u32 v0, vcc_lo, v43, s0
	v_add_co_ci_u32_e32 v1, vcc_lo, s1, v44, vcc_lo
	v_add_co_u32 v47, vcc_lo, 0x800, v137
	v_add_co_ci_u32_e32 v48, vcc_lo, 0, v138, vcc_lo
	;; [unrolled: 2-line block ×6, first 2 shown]
	global_load_dwordx4 v[43:46], v[0:1], off
	global_load_dwordx4 v[139:142], v[47:48], off offset:1952
	global_load_dwordx4 v[47:50], v[49:50], off
	global_load_dwordx4 v[131:134], v[51:52], off offset:160
	global_load_dwordx4 v[51:54], v[55:56], off
	v_add_co_u32 v55, vcc_lo, v55, s12
	v_add_co_ci_u32_e32 v56, vcc_lo, s13, v56, vcc_lo
	v_add_co_u32 v59, vcc_lo, 0x5800, v137
	v_add_co_ci_u32_e32 v60, vcc_lo, 0, v138, vcc_lo
	;; [unrolled: 2-line block ×4, first 2 shown]
	global_load_dwordx4 v[143:146], v[57:58], off offset:416
	global_load_dwordx4 v[55:58], v[55:56], off
	s_clause 0x1
	global_load_dwordx4 v[147:150], v[59:60], off offset:672
	global_load_dwordx4 v[151:154], v[61:62], off offset:928
	global_load_dwordx4 v[59:62], v[0:1], off
	v_cmp_gt_u16_e32 vcc_lo, 25, v2
	s_waitcnt vmcnt(22)
	v_mul_f64 v[63:64], v[5:6], v[85:86]
	s_waitcnt vmcnt(21)
	v_mul_f64 v[67:68], v[9:10], v[93:94]
	v_mul_f64 v[65:66], v[3:4], v[85:86]
	;; [unrolled: 1-line block ×3, first 2 shown]
	s_waitcnt vmcnt(20)
	v_mul_f64 v[71:72], v[13:14], v[97:98]
	s_waitcnt vmcnt(19)
	v_mul_f64 v[75:76], v[17:18], v[89:90]
	v_mul_f64 v[73:74], v[11:12], v[97:98]
	;; [unrolled: 1-line block ×3, first 2 shown]
	s_waitcnt vmcnt(18)
	v_mul_f64 v[79:80], v[21:22], v[129:130]
	v_mul_f64 v[81:82], v[19:20], v[129:130]
	v_fma_f64 v[3:4], v[3:4], v[83:84], v[63:64]
	buffer_store_dword v83, off, s[20:23], 0 offset:24 ; 4-byte Folded Spill
	buffer_store_dword v84, off, s[20:23], 0 offset:28 ; 4-byte Folded Spill
	;; [unrolled: 1-line block ×4, first 2 shown]
	v_fma_f64 v[7:8], v[7:8], v[91:92], v[67:68]
	buffer_store_dword v91, off, s[20:23], 0 offset:164 ; 4-byte Folded Spill
	buffer_store_dword v92, off, s[20:23], 0 offset:168 ; 4-byte Folded Spill
	;; [unrolled: 1-line block ×4, first 2 shown]
	s_waitcnt vmcnt(17)
	v_mul_f64 v[63:64], v[25:26], v[109:110]
	s_waitcnt vmcnt(16)
	v_mul_f64 v[67:68], v[29:30], v[117:118]
	v_fma_f64 v[11:12], v[11:12], v[95:96], v[71:72]
	buffer_store_dword v95, off, s[20:23], 0 offset:180 ; 4-byte Folded Spill
	buffer_store_dword v96, off, s[20:23], 0 offset:184 ; 4-byte Folded Spill
	;; [unrolled: 1-line block ×4, first 2 shown]
	v_fma_f64 v[15:16], v[15:16], v[87:88], v[75:76]
	buffer_store_dword v87, off, s[20:23], 0 offset:132 ; 4-byte Folded Spill
	buffer_store_dword v88, off, s[20:23], 0 offset:136 ; 4-byte Folded Spill
	;; [unrolled: 1-line block ×4, first 2 shown]
	s_waitcnt vmcnt(14)
	v_mul_f64 v[71:72], v[33:34], v[125:126]
	s_waitcnt vmcnt(12)
	v_mul_f64 v[75:76], v[37:38], v[121:122]
	v_fma_f64 v[19:20], v[19:20], v[127:128], v[79:80]
	s_waitcnt vmcnt(10)
	v_mul_f64 v[85:86], v[39:40], v[113:114]
	buffer_store_dword v127, off, s[20:23], 0 offset:148 ; 4-byte Folded Spill
	buffer_store_dword v128, off, s[20:23], 0 offset:152 ; 4-byte Folded Spill
	;; [unrolled: 1-line block ×4, first 2 shown]
	s_waitcnt vmcnt(8)
	v_mul_f64 v[89:90], v[43:44], v[141:142]
	s_waitcnt vmcnt(6)
	v_mul_f64 v[93:94], v[47:48], v[133:134]
	;; [unrolled: 2-line block ×4, first 2 shown]
	v_mul_f64 v[101:102], v[55:56], v[149:150]
	s_waitcnt vmcnt(0)
	v_mul_f64 v[103:104], v[61:62], v[153:154]
	v_mul_f64 v[105:106], v[59:60], v[153:154]
	v_fma_f64 v[55:56], v[55:56], v[147:148], v[99:100]
	v_fma_f64 v[59:60], v[59:60], v[151:152], v[103:104]
	v_fma_f64 v[5:6], v[5:6], v[83:84], -v[65:66]
	v_mul_f64 v[83:84], v[41:42], v[113:114]
	v_fma_f64 v[9:10], v[9:10], v[91:92], -v[69:70]
	v_mul_f64 v[91:92], v[49:50], v[133:134]
	v_mul_f64 v[65:66], v[23:24], v[109:110]
	;; [unrolled: 1-line block ×3, first 2 shown]
	v_fma_f64 v[23:24], v[23:24], v[107:108], v[63:64]
	buffer_store_dword v107, off, s[20:23], 0 offset:52 ; 4-byte Folded Spill
	buffer_store_dword v108, off, s[20:23], 0 offset:56 ; 4-byte Folded Spill
	;; [unrolled: 1-line block ×4, first 2 shown]
	v_fma_f64 v[27:28], v[27:28], v[115:116], v[67:68]
	buffer_store_dword v115, off, s[20:23], 0 offset:84 ; 4-byte Folded Spill
	buffer_store_dword v116, off, s[20:23], 0 offset:88 ; 4-byte Folded Spill
	;; [unrolled: 1-line block ×4, first 2 shown]
	v_fma_f64 v[13:14], v[13:14], v[95:96], -v[73:74]
	v_mul_f64 v[95:96], v[53:54], v[145:146]
	v_fma_f64 v[17:18], v[17:18], v[87:88], -v[77:78]
	v_mul_f64 v[87:88], v[45:46], v[141:142]
	v_mul_f64 v[73:74], v[31:32], v[125:126]
	;; [unrolled: 1-line block ×3, first 2 shown]
	v_fma_f64 v[31:32], v[31:32], v[123:124], v[71:72]
	buffer_store_dword v123, off, s[20:23], 0 offset:116 ; 4-byte Folded Spill
	buffer_store_dword v124, off, s[20:23], 0 offset:120 ; 4-byte Folded Spill
	;; [unrolled: 1-line block ×4, first 2 shown]
	v_fma_f64 v[35:36], v[35:36], v[119:120], v[75:76]
	buffer_store_dword v119, off, s[20:23], 0 offset:100 ; 4-byte Folded Spill
	buffer_store_dword v120, off, s[20:23], 0 offset:104 ; 4-byte Folded Spill
	;; [unrolled: 1-line block ×4, first 2 shown]
	v_fma_f64 v[21:22], v[21:22], v[127:128], -v[81:82]
	v_fma_f64 v[39:40], v[39:40], v[111:112], v[83:84]
	buffer_store_dword v111, off, s[20:23], 0 offset:68 ; 4-byte Folded Spill
	buffer_store_dword v112, off, s[20:23], 0 offset:72 ; 4-byte Folded Spill
	;; [unrolled: 1-line block ×4, first 2 shown]
	v_fma_f64 v[47:48], v[47:48], v[131:132], v[91:92]
	v_fma_f64 v[51:52], v[51:52], v[143:144], v[95:96]
	;; [unrolled: 1-line block ×3, first 2 shown]
	buffer_store_dword v139, off, s[20:23], 0 offset:212 ; 4-byte Folded Spill
	buffer_store_dword v140, off, s[20:23], 0 offset:216 ; 4-byte Folded Spill
	;; [unrolled: 1-line block ×20, first 2 shown]
	s_load_dwordx2 s[6:7], s[4:5], 0x38
	s_load_dwordx4 s[8:11], s[2:3], 0x0
	v_fma_f64 v[25:26], v[25:26], v[107:108], -v[65:66]
	v_fma_f64 v[29:30], v[29:30], v[115:116], -v[69:70]
	;; [unrolled: 1-line block ×10, first 2 shown]
	ds_write_b128 v136, v[3:6]
	ds_write_b128 v136, v[7:10] offset:6400
	ds_write_b128 v136, v[11:14] offset:12800
	;; [unrolled: 1-line block ×14, first 2 shown]
	s_and_saveexec_b32 s2, vcc_lo
	s_cbranch_execz .LBB0_3
; %bb.2:
	v_add_co_u32 v0, s0, v0, s0
	v_add_co_ci_u32_e64 v1, s0, s1, v1, s0
	v_add_co_u32 v8, s0, v0, s12
	v_add_co_ci_u32_e64 v9, s0, s13, v1, s0
	;; [unrolled: 2-line block ×4, first 2 shown]
	global_load_dwordx4 v[0:3], v[0:1], off
	global_load_dwordx4 v[4:7], v[4:5], off offset:1904
	global_load_dwordx4 v[8:11], v[8:9], off
	s_clause 0x1
	buffer_load_dword v12, off, s[20:23], 0 offset:16
	buffer_load_dword v13, off, s[20:23], 0 offset:20
	v_add_co_u32 v24, s0, v20, s12
	v_add_co_ci_u32_e64 v25, s0, s13, v21, s0
	v_add_co_u32 v32, s0, 0x7800, v137
	v_add_co_ci_u32_e64 v33, s0, 0, v138, s0
	;; [unrolled: 2-line block ×3, first 2 shown]
	s_waitcnt vmcnt(0)
	global_load_dwordx4 v[12:15], v[12:13], off offset:112
	global_load_dwordx4 v[16:19], v[20:21], off
	s_clause 0x1
	buffer_load_dword v20, off, s[20:23], 0 offset:8
	buffer_load_dword v21, off, s[20:23], 0 offset:12
	v_mul_f64 v[40:41], v[2:3], v[6:7]
	v_mul_f64 v[6:7], v[0:1], v[6:7]
	s_waitcnt vmcnt(0)
	global_load_dwordx4 v[20:23], v[20:21], off offset:368
	global_load_dwordx4 v[24:27], v[24:25], off
	s_clause 0x1
	buffer_load_dword v28, off, s[20:23], 0
	buffer_load_dword v29, off, s[20:23], 0 offset:4
	v_mul_f64 v[42:43], v[10:11], v[14:15]
	v_mul_f64 v[14:15], v[8:9], v[14:15]
	v_fma_f64 v[0:1], v[0:1], v[4:5], v[40:41]
	v_fma_f64 v[2:3], v[2:3], v[4:5], -v[6:7]
	s_waitcnt vmcnt(0)
	s_clause 0x1
	global_load_dwordx4 v[28:31], v[28:29], off offset:624
	global_load_dwordx4 v[32:35], v[32:33], off offset:880
	global_load_dwordx4 v[36:39], v[36:37], off
	v_mul_f64 v[44:45], v[18:19], v[22:23]
	v_mul_f64 v[22:23], v[16:17], v[22:23]
	v_fma_f64 v[4:5], v[8:9], v[12:13], v[42:43]
	v_fma_f64 v[6:7], v[10:11], v[12:13], -v[14:15]
	v_fma_f64 v[8:9], v[16:17], v[20:21], v[44:45]
	v_fma_f64 v[10:11], v[18:19], v[20:21], -v[22:23]
	s_waitcnt vmcnt(2)
	v_mul_f64 v[46:47], v[26:27], v[30:31]
	v_mul_f64 v[30:31], v[24:25], v[30:31]
	s_waitcnt vmcnt(0)
	v_mul_f64 v[48:49], v[38:39], v[34:35]
	v_mul_f64 v[34:35], v[36:37], v[34:35]
	v_fma_f64 v[12:13], v[24:25], v[28:29], v[46:47]
	v_fma_f64 v[14:15], v[26:27], v[28:29], -v[30:31]
	v_fma_f64 v[16:17], v[36:37], v[32:33], v[48:49]
	v_fma_f64 v[18:19], v[38:39], v[32:33], -v[34:35]
	ds_write_b128 v136, v[0:3] offset:6000
	ds_write_b128 v136, v[4:7] offset:12400
	;; [unrolled: 1-line block ×5, first 2 shown]
.LBB0_3:
	s_or_b32 exec_lo, exec_lo, s2
	s_waitcnt lgkmcnt(0)
	s_waitcnt_vscnt null, 0x0
	s_barrier
	buffer_gl0_inv
	ds_read_b128 v[72:75], v136
	ds_read_b128 v[60:63], v136 offset:2000
	ds_read_b128 v[68:71], v136 offset:12800
	;; [unrolled: 1-line block ×14, first 2 shown]
                                        ; implicit-def: $vgpr28_vgpr29
                                        ; implicit-def: $vgpr16_vgpr17
                                        ; implicit-def: $vgpr32_vgpr33
                                        ; implicit-def: $vgpr24_vgpr25
                                        ; implicit-def: $vgpr8_vgpr9
	s_and_saveexec_b32 s0, vcc_lo
	s_cbranch_execz .LBB0_5
; %bb.4:
	ds_read_b128 v[28:31], v136 offset:6000
	ds_read_b128 v[16:19], v136 offset:12400
	;; [unrolled: 1-line block ×5, first 2 shown]
.LBB0_5:
	s_or_b32 exec_lo, exec_lo, s0
	s_waitcnt lgkmcnt(4)
	v_add_f64 v[80:81], v[68:69], v[64:65]
	v_add_f64 v[82:83], v[76:77], v[44:45]
	v_add_co_u32 v134, s2, 0x7d, v212
	v_add_co_ci_u32_e64 v84, null, 0, 0, s2
	v_add_co_u32 v133, s2, 0xfa, v212
	v_add_co_ci_u32_e64 v84, null, 0, 0, s2
	v_add_f64 v[84:85], v[72:73], v[76:77]
	v_add_f64 v[86:87], v[78:79], -v[46:47]
	v_add_f64 v[88:89], v[70:71], -v[66:67]
	v_add_f64 v[90:91], v[70:71], v[66:67]
	v_add_f64 v[94:95], v[78:79], v[46:47]
	s_waitcnt lgkmcnt(2)
	v_add_f64 v[98:99], v[52:53], v[48:49]
	s_mov_b32 s12, 0x134454ff
	s_mov_b32 s13, 0x3fee6f0e
	;; [unrolled: 1-line block ×4, first 2 shown]
	v_add_f64 v[92:93], v[44:45], -v[64:65]
	v_add_f64 v[96:97], v[68:69], -v[76:77]
	v_fma_f64 v[80:81], v[80:81], -0.5, v[72:73]
	v_fma_f64 v[72:73], v[82:83], -0.5, v[72:73]
	v_add_f64 v[82:83], v[76:77], -v[68:69]
	v_add_f64 v[100:101], v[64:65], -v[44:45]
	v_add_f64 v[102:103], v[74:75], v[78:79]
	v_add_f64 v[76:77], v[76:77], -v[44:45]
	v_add_f64 v[104:105], v[68:69], -v[64:65]
	v_add_f64 v[108:109], v[56:57], v[40:41]
	v_add_f64 v[116:117], v[58:59], -v[42:43]
	v_add_f64 v[122:123], v[54:55], v[50:51]
	v_add_f64 v[68:69], v[84:85], v[68:69]
	;; [unrolled: 1-line block ×3, first 2 shown]
	s_load_dwordx2 s[0:1], s[4:5], 0x8
	v_fma_f64 v[84:85], v[90:91], -0.5, v[74:75]
	v_fma_f64 v[74:75], v[94:95], -0.5, v[74:75]
	v_add_f64 v[94:95], v[60:61], v[56:57]
	v_fma_f64 v[98:99], v[98:99], -0.5, v[60:61]
	s_mov_b32 s4, 0x4755a5e
	s_mov_b32 s5, 0x3fe2cf23
	;; [unrolled: 1-line block ×4, first 2 shown]
	v_add_f64 v[106:107], v[78:79], -v[70:71]
	v_fma_f64 v[90:91], v[86:87], s[12:13], v[80:81]
	v_fma_f64 v[80:81], v[86:87], s[16:17], v[80:81]
	;; [unrolled: 1-line block ×4, first 2 shown]
	v_add_f64 v[112:113], v[46:47], -v[66:67]
	v_add_f64 v[78:79], v[70:71], -v[78:79]
	;; [unrolled: 1-line block ×5, first 2 shown]
	v_add_f64 v[82:83], v[82:83], v[92:93]
	v_add_f64 v[92:93], v[96:97], v[100:101]
	;; [unrolled: 1-line block ×3, first 2 shown]
	v_fma_f64 v[96:97], v[108:109], -0.5, v[60:61]
	v_add_f64 v[60:61], v[68:69], v[64:65]
	v_fma_f64 v[64:65], v[76:77], s[16:17], v[84:85]
	v_fma_f64 v[84:85], v[76:77], s[12:13], v[84:85]
	;; [unrolled: 1-line block ×3, first 2 shown]
	v_add_f64 v[102:103], v[48:49], -v[40:41]
	v_fma_f64 v[74:75], v[104:105], s[16:17], v[74:75]
	v_add_f64 v[94:95], v[94:95], v[52:53]
	v_add_f64 v[108:109], v[62:63], v[58:59]
	v_add_f64 v[126:127], v[56:57], -v[40:41]
	v_fma_f64 v[68:69], v[88:89], s[4:5], v[90:91]
	v_fma_f64 v[80:81], v[88:89], s[14:15], v[80:81]
	;; [unrolled: 1-line block ×4, first 2 shown]
	v_add_f64 v[86:87], v[40:41], -v[48:49]
	v_add_f64 v[90:91], v[52:53], -v[56:57]
	v_fma_f64 v[110:111], v[116:117], s[12:13], v[98:99]
	v_add_f64 v[128:129], v[52:53], -v[48:49]
	v_fma_f64 v[122:123], v[122:123], -0.5, v[62:63]
	v_fma_f64 v[98:99], v[116:117], s[16:17], v[98:99]
	v_fma_f64 v[62:63], v[124:125], -0.5, v[62:63]
	s_mov_b32 s2, 0x372fe950
	s_mov_b32 s3, 0x3fd3c6ef
	v_add_f64 v[66:67], v[70:71], v[66:67]
	v_fma_f64 v[70:71], v[118:119], s[16:17], v[96:97]
	v_add_f64 v[44:45], v[60:61], v[44:45]
	v_fma_f64 v[124:125], v[104:105], s[14:15], v[64:65]
	v_add_f64 v[78:79], v[78:79], v[114:115]
	v_fma_f64 v[74:75], v[76:77], s[4:5], v[74:75]
	v_add_f64 v[48:49], v[94:95], v[48:49]
	s_waitcnt lgkmcnt(0)
	v_add_f64 v[114:115], v[14:15], -v[2:3]
	v_add_f64 v[130:131], v[18:19], -v[34:35]
	v_fma_f64 v[52:53], v[82:83], s[2:3], v[68:69]
	v_fma_f64 v[56:57], v[82:83], s[2:3], v[80:81]
	;; [unrolled: 1-line block ×4, first 2 shown]
	v_add_f64 v[68:69], v[106:107], v[112:113]
	v_fma_f64 v[72:73], v[104:105], s[4:5], v[84:85]
	v_add_f64 v[80:81], v[20:21], v[4:5]
	v_fma_f64 v[82:83], v[76:77], s[14:15], v[100:101]
	v_fma_f64 v[76:77], v[118:119], s[12:13], v[96:97]
	;; [unrolled: 1-line block ×3, first 2 shown]
	v_add_f64 v[88:89], v[108:109], v[54:55]
	v_add_f64 v[86:87], v[120:121], v[86:87]
	;; [unrolled: 1-line block ×3, first 2 shown]
	v_fma_f64 v[94:95], v[118:119], s[14:15], v[98:99]
	v_fma_f64 v[96:97], v[126:127], s[16:17], v[122:123]
	v_add_f64 v[98:99], v[58:59], -v[54:55]
	v_add_f64 v[100:101], v[42:43], -v[50:51]
	v_fma_f64 v[104:105], v[126:127], s[12:13], v[122:123]
	v_add_f64 v[90:91], v[90:91], v[102:103]
	v_fma_f64 v[102:103], v[128:129], s[12:13], v[62:63]
	v_add_f64 v[106:107], v[54:55], -v[58:59]
	v_add_f64 v[108:109], v[50:51], -v[42:43]
	v_fma_f64 v[70:71], v[116:117], s[4:5], v[70:71]
	v_fma_f64 v[110:111], v[128:129], s[16:17], v[62:63]
	v_add_f64 v[112:113], v[36:37], v[12:13]
	v_add_f64 v[46:47], v[66:67], v[46:47]
	v_fma_f64 v[54:55], v[68:69], s[2:3], v[124:125]
	v_fma_f64 v[58:59], v[68:69], s[2:3], v[72:73]
	v_fma_f64 v[80:81], v[80:81], -0.5, v[36:37]
	v_fma_f64 v[62:63], v[78:79], s[2:3], v[82:83]
	v_fma_f64 v[76:77], v[116:117], s[14:15], v[76:77]
	v_add_f64 v[82:83], v[22:23], -v[6:7]
	v_add_f64 v[50:51], v[88:89], v[50:51]
	v_fma_f64 v[66:67], v[78:79], s[2:3], v[74:75]
	v_fma_f64 v[36:37], v[92:93], -0.5, v[36:37]
	v_add_f64 v[40:41], v[48:49], v[40:41]
	v_fma_f64 v[74:75], v[128:129], s[14:15], v[96:97]
	v_fma_f64 v[48:49], v[86:87], s[2:3], v[84:85]
	v_add_f64 v[78:79], v[98:99], v[100:101]
	v_fma_f64 v[88:89], v[128:129], s[4:5], v[104:105]
	v_fma_f64 v[68:69], v[86:87], s[2:3], v[94:95]
	;; [unrolled: 1-line block ×3, first 2 shown]
	v_add_f64 v[84:85], v[22:23], v[6:7]
	v_add_f64 v[92:93], v[106:107], v[108:109]
	v_fma_f64 v[72:73], v[90:91], s[2:3], v[70:71]
	v_fma_f64 v[94:95], v[126:127], s[4:5], v[110:111]
	v_add_f64 v[96:97], v[112:113], v[20:21]
	v_add_f64 v[100:101], v[14:15], v[2:3]
	v_add_f64 v[102:103], v[12:13], -v[20:21]
	v_add_f64 v[104:105], v[0:1], -v[4:5]
	v_fma_f64 v[98:99], v[114:115], s[12:13], v[80:81]
	v_fma_f64 v[80:81], v[114:115], s[16:17], v[80:81]
	;; [unrolled: 1-line block ×3, first 2 shown]
	v_add_f64 v[90:91], v[32:33], v[24:25]
	v_add_f64 v[42:43], v[50:51], v[42:43]
	v_add_f64 v[108:109], v[20:21], -v[12:13]
	v_fma_f64 v[106:107], v[82:83], s[16:17], v[36:37]
	v_add_f64 v[110:111], v[16:17], v[8:9]
	v_add_f64 v[112:113], v[4:5], -v[0:1]
	v_add_f64 v[116:117], v[38:39], v[14:15]
	v_fma_f64 v[50:51], v[78:79], s[2:3], v[74:75]
	v_fma_f64 v[70:71], v[78:79], s[2:3], v[88:89]
	v_add_f64 v[88:89], v[34:35], v[26:27]
	v_add_f64 v[12:13], v[12:13], -v[0:1]
	v_fma_f64 v[84:85], v[84:85], -0.5, v[38:39]
	v_fma_f64 v[74:75], v[92:93], s[2:3], v[86:87]
	v_add_f64 v[86:87], v[18:19], v[10:11]
	v_fma_f64 v[78:79], v[92:93], s[2:3], v[94:95]
	v_add_f64 v[92:93], v[96:97], v[4:5]
	v_add_f64 v[4:5], v[20:21], -v[4:5]
	v_fma_f64 v[20:21], v[100:101], -0.5, v[38:39]
	v_add_f64 v[94:95], v[102:103], v[104:105]
	v_fma_f64 v[38:39], v[82:83], s[4:5], v[98:99]
	v_add_f64 v[96:97], v[28:29], v[16:17]
	v_add_f64 v[98:99], v[18:19], -v[10:11]
	v_fma_f64 v[90:91], v[90:91], -0.5, v[28:29]
	v_fma_f64 v[80:81], v[82:83], s[14:15], v[80:81]
	v_add_f64 v[102:103], v[34:35], -v[26:27]
	v_fma_f64 v[100:101], v[114:115], s[4:5], v[106:107]
	v_fma_f64 v[28:29], v[110:111], -0.5, v[28:29]
	v_add_f64 v[104:105], v[108:109], v[112:113]
	v_fma_f64 v[36:37], v[82:83], s[12:13], v[36:37]
	v_add_f64 v[82:83], v[30:31], v[18:19]
	v_add_f64 v[106:107], v[16:17], -v[8:9]
	v_fma_f64 v[88:89], v[88:89], -0.5, v[30:31]
	v_add_f64 v[112:113], v[32:33], -v[24:25]
	v_add_f64 v[108:109], v[116:117], v[22:23]
	v_fma_f64 v[110:111], v[12:13], s[16:17], v[84:85]
	v_fma_f64 v[30:31], v[86:87], -0.5, v[30:31]
	v_add_f64 v[86:87], v[14:15], -v[22:23]
	v_add_f64 v[116:117], v[2:3], -v[6:7]
	v_fma_f64 v[84:85], v[12:13], s[12:13], v[84:85]
	v_fma_f64 v[118:119], v[4:5], s[12:13], v[20:21]
	v_add_f64 v[14:15], v[22:23], -v[14:15]
	v_add_f64 v[22:23], v[6:7], -v[2:3]
	v_fma_f64 v[20:21], v[4:5], s[16:17], v[20:21]
	v_add_f64 v[96:97], v[96:97], v[32:33]
	v_fma_f64 v[120:121], v[98:99], s[12:13], v[90:91]
	v_add_f64 v[122:123], v[16:17], -v[32:33]
	v_add_f64 v[124:125], v[8:9], -v[24:25]
	v_fma_f64 v[90:91], v[98:99], s[16:17], v[90:91]
	v_fma_f64 v[126:127], v[102:103], s[16:17], v[28:29]
	v_add_f64 v[16:17], v[32:33], -v[16:17]
	v_add_f64 v[32:33], v[24:25], -v[8:9]
	v_fma_f64 v[28:29], v[102:103], s[12:13], v[28:29]
	v_add_f64 v[82:83], v[82:83], v[34:35]
	v_fma_f64 v[128:129], v[106:107], s[16:17], v[88:89]
	v_add_f64 v[139:140], v[10:11], -v[26:27]
	v_fma_f64 v[88:89], v[106:107], s[12:13], v[88:89]
	v_add_f64 v[18:19], v[34:35], -v[18:19]
	;; [unrolled: 2-line block ×3, first 2 shown]
	v_fma_f64 v[30:31], v[112:113], s[16:17], v[30:31]
	v_add_f64 v[6:7], v[108:109], v[6:7]
	v_fma_f64 v[36:37], v[114:115], s[14:15], v[36:37]
	v_fma_f64 v[108:109], v[4:5], s[14:15], v[110:111]
	v_add_f64 v[86:87], v[86:87], v[116:117]
	v_fma_f64 v[84:85], v[4:5], s[4:5], v[84:85]
	;; [unrolled: 3-line block ×3, first 2 shown]
	v_add_f64 v[24:25], v[96:97], v[24:25]
	v_fma_f64 v[96:97], v[102:103], s[4:5], v[120:121]
	v_add_f64 v[114:115], v[122:123], v[124:125]
	v_fma_f64 v[90:91], v[102:103], s[14:15], v[90:91]
	v_fma_f64 v[102:103], v[98:99], s[4:5], v[126:127]
	v_add_f64 v[116:117], v[16:17], v[32:33]
	v_fma_f64 v[98:99], v[98:99], s[14:15], v[28:29]
	v_add_f64 v[26:27], v[82:83], v[26:27]
	;; [unrolled: 2-line block ×3, first 2 shown]
	v_fma_f64 v[88:89], v[112:113], s[4:5], v[88:89]
	v_fma_f64 v[112:113], v[106:107], s[14:15], v[141:142]
	v_add_f64 v[120:121], v[18:19], v[34:35]
	v_fma_f64 v[106:107], v[106:107], s[4:5], v[30:31]
	v_add_f64 v[0:1], v[92:93], v[0:1]
	v_add_f64 v[2:3], v[6:7], v[2:3]
	v_fma_f64 v[12:13], v[94:95], s[2:3], v[80:81]
	v_mul_lo_u16 v80, v212, 5
	v_mov_b32_e32 v81, 4
	v_fma_f64 v[4:5], v[94:95], s[2:3], v[38:39]
	v_fma_f64 v[6:7], v[86:87], s[2:3], v[108:109]
	;; [unrolled: 1-line block ×5, first 2 shown]
	v_add_f64 v[8:9], v[24:25], v[8:9]
	v_fma_f64 v[16:17], v[114:115], s[2:3], v[96:97]
	v_fma_f64 v[28:29], v[114:115], s[2:3], v[90:91]
	;; [unrolled: 1-line block ×4, first 2 shown]
	v_add_f64 v[10:11], v[26:27], v[10:11]
	v_fma_f64 v[32:33], v[104:105], s[2:3], v[100:101]
	v_fma_f64 v[18:19], v[118:119], s[2:3], v[82:83]
	;; [unrolled: 1-line block ×6, first 2 shown]
	v_lshlrev_b32_sdwa v81, v81, v80 dst_sel:DWORD dst_unused:UNUSED_PAD src0_sel:DWORD src1_sel:WORD_0
	v_mul_u32_u24_e32 v80, 5, v134
	s_barrier
	buffer_gl0_inv
	ds_write_b128 v81, v[44:47]
	ds_write_b128 v81, v[52:55] offset:16
	v_mul_u32_u24_e32 v44, 5, v133
	v_lshlrev_b32_e32 v45, 4, v80
	v_add_co_u32 v132, null, 0x177, v212
	ds_write_b128 v81, v[60:63] offset:32
	ds_write_b128 v81, v[64:67] offset:48
	buffer_store_dword v81, off, s[20:23], 0 offset:308 ; 4-byte Folded Spill
	ds_write_b128 v81, v[56:59] offset:64
	ds_write_b128 v45, v[40:43]
	v_lshlrev_b32_e32 v40, 4, v44
	ds_write_b128 v45, v[48:51] offset:16
	ds_write_b128 v45, v[72:75] offset:32
	;; [unrolled: 1-line block ×3, first 2 shown]
	buffer_store_dword v45, off, s[20:23], 0 offset:312 ; 4-byte Folded Spill
	ds_write_b128 v45, v[68:71] offset:64
	ds_write_b128 v40, v[0:3]
	v_mul_u32_u24_e32 v0, 5, v132
	buffer_store_dword v0, off, s[20:23], 0 offset:508 ; 4-byte Folded Spill
	ds_write_b128 v40, v[4:7] offset:16
	ds_write_b128 v40, v[32:35] offset:32
	;; [unrolled: 1-line block ×3, first 2 shown]
	buffer_store_dword v40, off, s[20:23], 0 offset:316 ; 4-byte Folded Spill
	ds_write_b128 v40, v[12:15] offset:64
	s_and_saveexec_b32 s2, vcc_lo
	s_cbranch_execz .LBB0_7
; %bb.6:
	v_mul_u32_u24_e32 v0, 5, v132
	v_lshlrev_b32_e32 v0, 4, v0
	ds_write_b128 v0, v[8:11]
	ds_write_b128 v0, v[16:19] offset:16
	ds_write_b128 v0, v[20:23] offset:32
	;; [unrolled: 1-line block ×4, first 2 shown]
.LBB0_7:
	s_or_b32 exec_lo, exec_lo, s2
	s_waitcnt lgkmcnt(0)
	s_waitcnt_vscnt null, 0x0
	s_barrier
	buffer_gl0_inv
	ds_read_b128 v[12:15], v136
	ds_read_b128 v[4:7], v136 offset:2000
	ds_read_b128 v[92:95], v136 offset:12800
	;; [unrolled: 1-line block ×14, first 2 shown]
	s_and_saveexec_b32 s2, vcc_lo
	s_cbranch_execz .LBB0_9
; %bb.8:
	ds_read_b128 v[8:11], v136 offset:6000
	ds_read_b128 v[16:19], v136 offset:12400
	;; [unrolled: 1-line block ×5, first 2 shown]
.LBB0_9:
	s_or_b32 exec_lo, exec_lo, s2
	v_and_b32_e32 v135, 0xff, v212
	v_and_b32_e32 v139, 0xff, v134
	v_mov_b32_e32 v128, 4
	s_mov_b32 s14, 0x134454ff
	s_mov_b32 s15, 0x3fee6f0e
	v_mul_lo_u16 v60, 0xcd, v135
	v_mul_lo_u16 v61, 0xcd, v139
	s_mov_b32 s13, 0xbfee6f0e
	s_mov_b32 s12, s14
	;; [unrolled: 1-line block ×3, first 2 shown]
	v_lshrrev_b16 v129, 10, v60
	v_lshrrev_b16 v131, 10, v61
	s_mov_b32 s3, 0x3fe2cf23
	s_mov_b32 s5, 0xbfe2cf23
	;; [unrolled: 1-line block ×3, first 2 shown]
	v_mul_lo_u16 v60, v129, 5
	v_mul_lo_u16 v61, v131, 5
	s_mov_b32 s16, 0x372fe950
	s_mov_b32 s17, 0x3fd3c6ef
	v_sub_nc_u16 v60, v212, v60
	v_and_b32_e32 v130, 0xff, v60
	v_lshlrev_b32_e32 v60, 6, v130
	s_clause 0x3
	global_load_dwordx4 v[68:71], v60, s[0:1]
	global_load_dwordx4 v[73:76], v60, s[0:1] offset:16
	global_load_dwordx4 v[88:91], v60, s[0:1] offset:32
	;; [unrolled: 1-line block ×3, first 2 shown]
	v_sub_nc_u16 v60, v134, v61
	v_and_b32_e32 v140, 0xff, v60
	v_lshlrev_b32_e32 v72, 6, v140
	s_clause 0x1
	global_load_dwordx4 v[104:107], v72, s[0:1]
	global_load_dwordx4 v[108:111], v72, s[0:1] offset:16
	s_waitcnt vmcnt(5) lgkmcnt(8)
	v_mul_f64 v[60:61], v[102:103], v[70:71]
	v_mul_f64 v[62:63], v[100:101], v[70:71]
	s_waitcnt vmcnt(4)
	v_mul_f64 v[64:65], v[94:95], v[75:76]
	v_mul_f64 v[66:67], v[92:93], v[75:76]
	v_fma_f64 v[60:61], v[100:101], v[68:69], -v[60:61]
	buffer_store_dword v68, off, s[20:23], 0 offset:292 ; 4-byte Folded Spill
	buffer_store_dword v69, off, s[20:23], 0 offset:296 ; 4-byte Folded Spill
	;; [unrolled: 1-line block ×4, first 2 shown]
	v_fma_f64 v[64:65], v[92:93], v[73:74], -v[64:65]
	buffer_store_dword v73, off, s[20:23], 0 offset:276 ; 4-byte Folded Spill
	buffer_store_dword v74, off, s[20:23], 0 offset:280 ; 4-byte Folded Spill
	;; [unrolled: 1-line block ×4, first 2 shown]
	s_waitcnt vmcnt(3) lgkmcnt(4)
	v_mul_f64 v[70:71], v[96:97], v[90:91]
	s_waitcnt vmcnt(2)
	v_mul_f64 v[92:93], v[82:83], v[114:115]
	v_fma_f64 v[124:125], v[80:81], v[112:113], -v[92:93]
	v_fma_f64 v[62:63], v[102:103], v[68:69], v[62:63]
	v_mul_f64 v[68:69], v[98:99], v[90:91]
	v_fma_f64 v[66:67], v[94:95], v[73:74], v[66:67]
	v_mul_f64 v[94:95], v[80:81], v[114:115]
	v_fma_f64 v[68:69], v[96:97], v[88:89], -v[68:69]
	buffer_store_dword v88, off, s[20:23], 0 offset:320 ; 4-byte Folded Spill
	buffer_store_dword v89, off, s[20:23], 0 offset:324 ; 4-byte Folded Spill
	;; [unrolled: 1-line block ×4, first 2 shown]
	s_waitcnt vmcnt(1)
	v_mul_f64 v[96:97], v[86:87], v[106:107]
	buffer_store_dword v112, off, s[20:23], 0 offset:400 ; 4-byte Folded Spill
	buffer_store_dword v113, off, s[20:23], 0 offset:404 ; 4-byte Folded Spill
	;; [unrolled: 1-line block ×4, first 2 shown]
	global_load_dwordx4 v[73:76], v72, s[0:1] offset:32
	v_fma_f64 v[145:146], v[84:85], v[104:105], -v[96:97]
	v_fma_f64 v[70:71], v[98:99], v[88:89], v[70:71]
	v_mul_f64 v[98:99], v[84:85], v[106:107]
	buffer_store_dword v104, off, s[20:23], 0 offset:336 ; 4-byte Folded Spill
	buffer_store_dword v105, off, s[20:23], 0 offset:340 ; 4-byte Folded Spill
	;; [unrolled: 1-line block ×4, first 2 shown]
	s_waitcnt vmcnt(1)
	v_mul_f64 v[84:85], v[54:55], v[110:111]
	v_fma_f64 v[126:127], v[82:83], v[112:113], v[94:95]
	s_waitcnt vmcnt(0) lgkmcnt(2)
	v_mul_f64 v[92:93], v[58:59], v[75:76]
	v_fma_f64 v[149:150], v[56:57], v[73:74], -v[92:93]
	v_mul_f64 v[56:57], v[56:57], v[75:76]
	v_fma_f64 v[147:148], v[86:87], v[104:105], v[98:99]
	v_mul_f64 v[86:87], v[52:53], v[110:111]
	v_fma_f64 v[52:53], v[52:53], v[108:109], -v[84:85]
	buffer_store_dword v108, off, s[20:23], 0 offset:352 ; 4-byte Folded Spill
	buffer_store_dword v109, off, s[20:23], 0 offset:356 ; 4-byte Folded Spill
	;; [unrolled: 1-line block ×4, first 2 shown]
	global_load_dwordx4 v[77:80], v72, s[0:1] offset:48
	buffer_store_dword v73, off, s[20:23], 0 offset:368 ; 4-byte Folded Spill
	buffer_store_dword v74, off, s[20:23], 0 offset:372 ; 4-byte Folded Spill
	;; [unrolled: 1-line block ×4, first 2 shown]
	v_mov_b32_e32 v72, 0xcccd
	v_fma_f64 v[54:55], v[54:55], v[108:109], v[86:87]
	v_fma_f64 v[56:57], v[58:59], v[73:74], v[56:57]
	s_waitcnt vmcnt(0)
	v_mul_f64 v[58:59], v[50:51], v[79:80]
	v_fma_f64 v[58:59], v[48:49], v[77:78], -v[58:59]
	v_mul_f64 v[48:49], v[48:49], v[79:80]
	buffer_store_dword v77, off, s[20:23], 0 offset:384 ; 4-byte Folded Spill
	buffer_store_dword v78, off, s[20:23], 0 offset:388 ; 4-byte Folded Spill
	;; [unrolled: 1-line block ×4, first 2 shown]
	v_fma_f64 v[48:49], v[50:51], v[77:78], v[48:49]
	v_mul_u32_u24_sdwa v50, v133, v72 dst_sel:DWORD dst_unused:UNUSED_PAD src0_sel:WORD_0 src1_sel:DWORD
	v_lshrrev_b32_e32 v141, 18, v50
	v_mul_lo_u16 v50, v141, 5
	v_sub_nc_u16 v142, v133, v50
	v_lshlrev_b16 v50, 2, v142
	v_lshlrev_b32_sdwa v73, v128, v50 dst_sel:DWORD dst_unused:UNUSED_PAD src0_sel:DWORD src1_sel:WORD_0
	s_clause 0x1
	global_load_dwordx4 v[116:119], v73, s[0:1]
	global_load_dwordx4 v[112:115], v73, s[0:1] offset:16
	s_waitcnt vmcnt(1)
	v_mul_f64 v[50:51], v[46:47], v[118:119]
	v_fma_f64 v[151:152], v[44:45], v[116:117], -v[50:51]
	v_mul_f64 v[44:45], v[44:45], v[118:119]
	v_add_f64 v[50:51], v[147:148], -v[48:49]
	v_fma_f64 v[153:154], v[46:47], v[116:117], v[44:45]
	s_waitcnt vmcnt(0)
	v_mul_f64 v[44:45], v[42:43], v[114:115]
	v_fma_f64 v[155:156], v[40:41], v[112:113], -v[44:45]
	v_mul_f64 v[40:41], v[40:41], v[114:115]
	v_fma_f64 v[157:158], v[42:43], v[112:113], v[40:41]
	s_clause 0x1
	global_load_dwordx4 v[108:111], v73, s[0:1] offset:32
	global_load_dwordx4 v[42:45], v73, s[0:1] offset:48
	s_waitcnt vmcnt(1) lgkmcnt(1)
	v_mul_f64 v[40:41], v[38:39], v[110:111]
	v_fma_f64 v[159:160], v[36:37], v[108:109], -v[40:41]
	v_mul_f64 v[36:37], v[36:37], v[110:111]
	v_add_f64 v[40:41], v[64:65], -v[60:61]
	v_fma_f64 v[161:162], v[38:39], v[108:109], v[36:37]
	s_waitcnt vmcnt(0) lgkmcnt(0)
	v_mul_f64 v[36:37], v[34:35], v[44:45]
	v_fma_f64 v[163:164], v[32:33], v[42:43], -v[36:37]
	v_mul_f64 v[32:33], v[32:33], v[44:45]
	buffer_store_dword v42, off, s[20:23], 0 offset:416 ; 4-byte Folded Spill
	buffer_store_dword v43, off, s[20:23], 0 offset:420 ; 4-byte Folded Spill
	;; [unrolled: 1-line block ×4, first 2 shown]
	v_add_f64 v[44:45], v[68:69], -v[124:125]
	v_fma_f64 v[165:166], v[34:35], v[42:43], v[32:33]
	v_mul_u32_u24_sdwa v32, v132, v72 dst_sel:DWORD dst_unused:UNUSED_PAD src0_sel:WORD_0 src1_sel:DWORD
	v_add_f64 v[42:43], v[66:67], -v[62:63]
	v_lshrrev_b32_e32 v143, 18, v32
	v_mul_lo_u16 v32, v143, 5
	v_sub_nc_u16 v144, v132, v32
	v_lshlrev_b16 v32, 2, v144
	v_lshlrev_b32_sdwa v34, v128, v32 dst_sel:DWORD dst_unused:UNUSED_PAD src0_sel:DWORD src1_sel:WORD_0
	s_clause 0x1
	global_load_dwordx4 v[120:123], v34, s[0:1]
	global_load_dwordx4 v[35:38], v34, s[0:1] offset:16
	s_waitcnt vmcnt(1)
	v_mul_f64 v[32:33], v[18:19], v[122:123]
	v_fma_f64 v[167:168], v[16:17], v[120:121], -v[32:33]
	v_mul_f64 v[16:17], v[16:17], v[122:123]
	v_add_f64 v[32:33], v[60:61], -v[124:125]
	v_fma_f64 v[169:170], v[18:19], v[120:121], v[16:17]
	s_waitcnt vmcnt(0)
	v_mul_f64 v[16:17], v[22:23], v[37:38]
	v_fma_f64 v[171:172], v[20:21], v[35:36], -v[16:17]
	v_mul_f64 v[16:17], v[20:21], v[37:38]
	buffer_store_dword v35, off, s[20:23], 0 offset:448 ; 4-byte Folded Spill
	buffer_store_dword v36, off, s[20:23], 0 offset:452 ; 4-byte Folded Spill
	;; [unrolled: 1-line block ×4, first 2 shown]
	v_fma_f64 v[173:174], v[22:23], v[35:36], v[16:17]
	s_clause 0x1
	global_load_dwordx4 v[35:38], v34, s[0:1] offset:32
	global_load_dwordx4 v[18:21], v34, s[0:1] offset:48
	s_waitcnt vmcnt(1)
	v_mul_f64 v[16:17], v[26:27], v[37:38]
	v_fma_f64 v[175:176], v[24:25], v[35:36], -v[16:17]
	v_mul_f64 v[16:17], v[24:25], v[37:38]
	buffer_store_dword v35, off, s[20:23], 0 offset:464 ; 4-byte Folded Spill
	buffer_store_dword v36, off, s[20:23], 0 offset:468 ; 4-byte Folded Spill
	;; [unrolled: 1-line block ×4, first 2 shown]
	v_fma_f64 v[177:178], v[26:27], v[35:36], v[16:17]
	s_waitcnt vmcnt(0)
	v_mul_f64 v[16:17], v[30:31], v[20:21]
	v_add_f64 v[34:35], v[64:65], -v[68:69]
	v_fma_f64 v[179:180], v[28:29], v[18:19], -v[16:17]
	v_mul_f64 v[16:17], v[28:29], v[20:21]
	buffer_store_dword v18, off, s[20:23], 0 offset:432 ; 4-byte Folded Spill
	buffer_store_dword v19, off, s[20:23], 0 offset:436 ; 4-byte Folded Spill
	;; [unrolled: 1-line block ×4, first 2 shown]
	v_add_f64 v[28:29], v[62:63], -v[126:127]
	s_waitcnt_vscnt null, 0x0
	s_barrier
	buffer_gl0_inv
	v_fma_f64 v[181:182], v[30:31], v[18:19], v[16:17]
	v_add_f64 v[16:17], v[60:61], -v[64:65]
	v_add_f64 v[18:19], v[124:125], -v[68:69]
	;; [unrolled: 1-line block ×3, first 2 shown]
	v_add_f64 v[20:21], v[16:17], v[18:19]
	v_add_f64 v[16:17], v[62:63], -v[66:67]
	v_add_f64 v[18:19], v[126:127], -v[70:71]
	v_add_f64 v[22:23], v[16:17], v[18:19]
	v_add_f64 v[16:17], v[64:65], v[68:69]
	v_fma_f64 v[24:25], v[16:17], -0.5, v[12:13]
	v_add_f64 v[16:17], v[66:67], v[70:71]
	v_fma_f64 v[26:27], v[16:17], -0.5, v[14:15]
	v_fma_f64 v[16:17], v[28:29], s[14:15], v[24:25]
	v_fma_f64 v[24:25], v[28:29], s[12:13], v[24:25]
	;; [unrolled: 1-line block ×9, first 2 shown]
	v_add_f64 v[24:25], v[60:61], v[124:125]
	v_fma_f64 v[26:27], v[34:35], s[2:3], v[26:27]
	v_fma_f64 v[18:19], v[22:23], s[16:17], v[18:19]
	v_fma_f64 v[36:37], v[24:25], -0.5, v[12:13]
	v_add_f64 v[24:25], v[62:63], v[126:127]
	v_add_f64 v[12:13], v[12:13], v[60:61]
	v_fma_f64 v[22:23], v[22:23], s[16:17], v[26:27]
	v_add_f64 v[60:61], v[54:55], -v[56:57]
	v_fma_f64 v[38:39], v[24:25], -0.5, v[14:15]
	v_add_f64 v[14:15], v[14:15], v[62:63]
	v_add_f64 v[12:13], v[12:13], v[64:65]
	v_add_f64 v[62:63], v[145:146], -v[58:59]
	v_add_f64 v[64:65], v[52:53], -v[149:150]
	v_add_f64 v[14:15], v[14:15], v[66:67]
	v_add_f64 v[12:13], v[12:13], v[68:69]
	v_add_f64 v[66:67], v[52:53], -v[145:146]
	v_add_f64 v[68:69], v[155:156], -v[151:152]
	;; [unrolled: 4-line block ×3, first 2 shown]
	v_add_f64 v[26:27], v[14:15], v[126:127]
	v_fma_f64 v[14:15], v[30:31], s[12:13], v[36:37]
	v_fma_f64 v[30:31], v[30:31], s[14:15], v[36:37]
	;; [unrolled: 1-line block ×4, first 2 shown]
	v_add_f64 v[38:39], v[40:41], v[44:45]
	v_add_f64 v[12:13], v[42:43], v[12:13]
	v_fma_f64 v[14:15], v[28:29], s[2:3], v[14:15]
	v_fma_f64 v[40:41], v[28:29], s[4:5], v[30:31]
	;; [unrolled: 1-line block ×4, first 2 shown]
	v_add_f64 v[34:35], v[54:55], v[56:57]
	v_fma_f64 v[28:29], v[38:39], s[16:17], v[14:15]
	v_fma_f64 v[36:37], v[38:39], s[16:17], v[40:41]
	v_fma_f64 v[30:31], v[12:13], s[16:17], v[30:31]
	v_fma_f64 v[38:39], v[12:13], s[16:17], v[32:33]
	v_add_f64 v[12:13], v[145:146], -v[52:53]
	v_add_f64 v[14:15], v[58:59], -v[149:150]
	;; [unrolled: 1-line block ×3, first 2 shown]
	v_fma_f64 v[34:35], v[34:35], -0.5, v[6:7]
	v_add_f64 v[12:13], v[12:13], v[14:15]
	v_add_f64 v[14:15], v[147:148], -v[54:55]
	v_fma_f64 v[42:43], v[62:63], s[12:13], v[34:35]
	v_fma_f64 v[34:35], v[62:63], s[14:15], v[34:35]
	v_add_f64 v[14:15], v[14:15], v[32:33]
	v_add_f64 v[32:33], v[52:53], v[149:150]
	v_fma_f64 v[42:43], v[64:65], s[4:5], v[42:43]
	v_fma_f64 v[34:35], v[64:65], s[2:3], v[34:35]
	v_fma_f64 v[32:33], v[32:33], -0.5, v[4:5]
	v_fma_f64 v[42:43], v[14:15], s[16:17], v[42:43]
	v_fma_f64 v[14:15], v[14:15], s[16:17], v[34:35]
	v_add_f64 v[34:35], v[147:148], v[48:49]
	v_fma_f64 v[40:41], v[50:51], s[14:15], v[32:33]
	v_fma_f64 v[32:33], v[50:51], s[12:13], v[32:33]
	v_fma_f64 v[34:35], v[34:35], -0.5, v[6:7]
	v_add_f64 v[6:7], v[6:7], v[147:148]
	v_fma_f64 v[40:41], v[60:61], s[2:3], v[40:41]
	v_fma_f64 v[32:33], v[60:61], s[4:5], v[32:33]
	v_add_f64 v[6:7], v[6:7], v[54:55]
	v_fma_f64 v[40:41], v[12:13], s[16:17], v[40:41]
	v_fma_f64 v[12:13], v[12:13], s[16:17], v[32:33]
	v_add_f64 v[32:33], v[145:146], v[58:59]
	v_add_f64 v[6:7], v[6:7], v[56:57]
	v_fma_f64 v[32:33], v[32:33], -0.5, v[4:5]
	v_add_f64 v[4:5], v[4:5], v[145:146]
	v_add_f64 v[46:47], v[6:7], v[48:49]
	v_add_f64 v[145:146], v[159:160], -v[163:164]
	v_fma_f64 v[6:7], v[60:61], s[12:13], v[32:33]
	v_add_f64 v[4:5], v[4:5], v[52:53]
	v_add_f64 v[52:53], v[54:55], -v[147:148]
	v_add_f64 v[54:55], v[149:150], -v[58:59]
	v_fma_f64 v[32:33], v[60:61], s[14:15], v[32:33]
	v_add_f64 v[60:61], v[153:154], -v[165:166]
	v_fma_f64 v[6:7], v[50:51], s[2:3], v[6:7]
	v_add_f64 v[4:5], v[4:5], v[149:150]
	v_add_f64 v[54:55], v[66:67], v[54:55]
	v_fma_f64 v[32:33], v[50:51], s[4:5], v[32:33]
	v_add_f64 v[66:67], v[155:156], -v[159:160]
	v_add_f64 v[44:45], v[4:5], v[58:59]
	v_add_f64 v[4:5], v[56:57], -v[48:49]
	v_fma_f64 v[48:49], v[64:65], s[14:15], v[34:35]
	v_fma_f64 v[34:35], v[64:65], s[12:13], v[34:35]
	v_fma_f64 v[56:57], v[54:55], s[16:17], v[6:7]
	v_add_f64 v[6:7], v[163:164], -v[159:160]
	v_fma_f64 v[32:33], v[54:55], s[16:17], v[32:33]
	v_add_f64 v[64:65], v[151:152], -v[163:164]
	v_add_f64 v[4:5], v[52:53], v[4:5]
	v_fma_f64 v[48:49], v[62:63], s[4:5], v[48:49]
	v_fma_f64 v[34:35], v[62:63], s[2:3], v[34:35]
	v_add_f64 v[62:63], v[157:158], -v[161:162]
	v_fma_f64 v[58:59], v[4:5], s[16:17], v[48:49]
	v_fma_f64 v[34:35], v[4:5], s[16:17], v[34:35]
	v_add_f64 v[4:5], v[151:152], -v[155:156]
	v_add_f64 v[48:49], v[165:166], -v[161:162]
	v_add_f64 v[4:5], v[4:5], v[6:7]
	v_add_f64 v[6:7], v[153:154], -v[157:158]
	v_add_f64 v[6:7], v[6:7], v[48:49]
	v_add_f64 v[48:49], v[155:156], v[159:160]
	v_fma_f64 v[52:53], v[48:49], -0.5, v[0:1]
	v_add_f64 v[48:49], v[157:158], v[161:162]
	v_fma_f64 v[54:55], v[48:49], -0.5, v[2:3]
	v_fma_f64 v[48:49], v[60:61], s[14:15], v[52:53]
	v_fma_f64 v[52:53], v[60:61], s[12:13], v[52:53]
	;; [unrolled: 1-line block ×10, first 2 shown]
	v_add_f64 v[4:5], v[151:152], v[163:164]
	v_fma_f64 v[50:51], v[6:7], s[16:17], v[50:51]
	v_fma_f64 v[54:55], v[6:7], s[16:17], v[54:55]
	v_add_f64 v[6:7], v[153:154], v[165:166]
	v_fma_f64 v[4:5], v[4:5], -0.5, v[0:1]
	v_add_f64 v[0:1], v[0:1], v[151:152]
	v_fma_f64 v[6:7], v[6:7], -0.5, v[2:3]
	v_add_f64 v[2:3], v[2:3], v[153:154]
	v_add_f64 v[153:154], v[171:172], -v[167:168]
	v_add_f64 v[0:1], v[0:1], v[155:156]
	v_add_f64 v[155:156], v[173:174], -v[169:170]
	;; [unrolled: 2-line block ×3, first 2 shown]
	v_add_f64 v[0:1], v[0:1], v[159:160]
	v_add_f64 v[2:3], v[2:3], v[161:162]
	;; [unrolled: 1-line block ×3, first 2 shown]
	v_add_f64 v[0:1], v[161:162], -v[165:166]
	v_add_f64 v[126:127], v[2:3], v[165:166]
	v_fma_f64 v[2:3], v[62:63], s[12:13], v[4:5]
	v_fma_f64 v[4:5], v[62:63], s[14:15], v[4:5]
	;; [unrolled: 1-line block ×4, first 2 shown]
	v_add_f64 v[66:67], v[68:69], v[145:146]
	v_add_f64 v[0:1], v[70:71], v[0:1]
	v_add_f64 v[68:69], v[167:168], -v[179:180]
	v_add_f64 v[70:71], v[171:172], -v[175:176]
	v_fma_f64 v[2:3], v[60:61], s[2:3], v[2:3]
	v_fma_f64 v[4:5], v[60:61], s[4:5], v[4:5]
	;; [unrolled: 1-line block ×4, first 2 shown]
	v_add_f64 v[64:65], v[169:170], -v[181:182]
	v_fma_f64 v[145:146], v[66:67], s[16:17], v[2:3]
	v_add_f64 v[2:3], v[179:180], -v[175:176]
	v_fma_f64 v[147:148], v[0:1], s[16:17], v[60:61]
	v_fma_f64 v[151:152], v[0:1], s[16:17], v[6:7]
	v_add_f64 v[0:1], v[167:168], -v[171:172]
	v_fma_f64 v[149:150], v[66:67], s[16:17], v[4:5]
	v_add_f64 v[66:67], v[173:174], -v[177:178]
	v_add_f64 v[4:5], v[0:1], v[2:3]
	v_add_f64 v[0:1], v[169:170], -v[173:174]
	v_add_f64 v[2:3], v[181:182], -v[177:178]
	v_add_f64 v[6:7], v[0:1], v[2:3]
	v_add_f64 v[0:1], v[171:172], v[175:176]
	v_fma_f64 v[60:61], v[0:1], -0.5, v[8:9]
	v_add_f64 v[0:1], v[173:174], v[177:178]
	v_fma_f64 v[62:63], v[0:1], -0.5, v[10:11]
	v_fma_f64 v[0:1], v[64:65], s[14:15], v[60:61]
	v_fma_f64 v[60:61], v[64:65], s[12:13], v[60:61]
	;; [unrolled: 1-line block ×10, first 2 shown]
	v_add_f64 v[60:61], v[167:168], v[179:180]
	v_fma_f64 v[2:3], v[6:7], s[16:17], v[2:3]
	v_fma_f64 v[6:7], v[6:7], s[16:17], v[62:63]
	v_add_f64 v[62:63], v[169:170], v[181:182]
	v_fma_f64 v[60:61], v[60:61], -0.5, v[8:9]
	v_add_f64 v[8:9], v[8:9], v[167:168]
	v_fma_f64 v[62:63], v[62:63], -0.5, v[10:11]
	v_add_f64 v[10:11], v[10:11], v[169:170]
	v_add_f64 v[8:9], v[8:9], v[171:172]
	;; [unrolled: 1-line block ×6, first 2 shown]
	v_add_f64 v[8:9], v[177:178], -v[181:182]
	v_add_f64 v[190:191], v[10:11], v[181:182]
	v_fma_f64 v[10:11], v[66:67], s[12:13], v[60:61]
	v_fma_f64 v[60:61], v[66:67], s[14:15], v[60:61]
	v_fma_f64 v[66:67], v[70:71], s[14:15], v[62:63]
	v_fma_f64 v[62:63], v[70:71], s[12:13], v[62:63]
	v_add_f64 v[70:71], v[153:154], v[157:158]
	v_add_f64 v[153:154], v[155:156], v[8:9]
	v_fma_f64 v[8:9], v[64:65], s[2:3], v[10:11]
	v_fma_f64 v[60:61], v[64:65], s[4:5], v[60:61]
	;; [unrolled: 1-line block ×6, first 2 shown]
	v_mov_b32_e32 v60, 25
	v_fma_f64 v[10:11], v[153:154], s[16:17], v[10:11]
	v_fma_f64 v[194:195], v[153:154], s[16:17], v[62:63]
	v_mul_u32_u24_sdwa v61, v129, v60 dst_sel:DWORD dst_unused:UNUSED_PAD src0_sel:WORD_0 src1_sel:DWORD
	v_add_lshl_u32 v61, v61, v130, 4
	ds_write_b128 v61, v[24:27]
	ds_write_b128 v61, v[16:19] offset:80
	ds_write_b128 v61, v[28:31] offset:160
	;; [unrolled: 1-line block ×3, first 2 shown]
	v_mul_u32_u24_sdwa v16, v131, v60 dst_sel:DWORD dst_unused:UNUSED_PAD src0_sel:WORD_0 src1_sel:DWORD
	v_mad_u16 v18, v143, 25, v144
	buffer_store_dword v61, off, s[20:23], 0 offset:484 ; 4-byte Folded Spill
	ds_write_b128 v61, v[20:23] offset:320
	v_add_lshl_u32 v17, v16, v140, 4
	v_mad_u16 v16, v141, 25, v142
	ds_write_b128 v17, v[44:47]
	ds_write_b128 v17, v[40:43] offset:80
	ds_write_b128 v17, v[56:59] offset:160
	v_lshlrev_b32_sdwa v16, v128, v16 dst_sel:DWORD dst_unused:UNUSED_PAD src0_sel:DWORD src1_sel:WORD_0
	buffer_store_dword v18, off, s[20:23], 0 offset:496 ; 4-byte Folded Spill
	ds_write_b128 v17, v[32:35] offset:240
	buffer_store_dword v17, off, s[20:23], 0 offset:488 ; 4-byte Folded Spill
	ds_write_b128 v17, v[12:15] offset:320
	ds_write_b128 v16, v[124:127]
	ds_write_b128 v16, v[48:51] offset:80
	ds_write_b128 v16, v[145:148] offset:160
	;; [unrolled: 1-line block ×3, first 2 shown]
	buffer_store_dword v16, off, s[20:23], 0 offset:492 ; 4-byte Folded Spill
	ds_write_b128 v16, v[52:55] offset:320
	s_and_saveexec_b32 s2, vcc_lo
	s_cbranch_execz .LBB0_11
; %bb.10:
	buffer_load_dword v12, off, s[20:23], 0 offset:496 ; 4-byte Folded Reload
	s_waitcnt vmcnt(0)
	v_lshlrev_b32_sdwa v12, v128, v12 dst_sel:DWORD dst_unused:UNUSED_PAD src0_sel:DWORD src1_sel:WORD_0
	ds_write_b128 v12, v[188:191]
	ds_write_b128 v12, v[0:3] offset:80
	ds_write_b128 v12, v[8:11] offset:160
	;; [unrolled: 1-line block ×4, first 2 shown]
.LBB0_11:
	s_or_b32 exec_lo, exec_lo, s2
	s_waitcnt lgkmcnt(0)
	s_waitcnt_vscnt null, 0x0
	s_barrier
	buffer_gl0_inv
	ds_read_b128 v[16:19], v136
	ds_read_b128 v[12:15], v136 offset:2000
	ds_read_b128 v[56:59], v136 offset:12800
	;; [unrolled: 1-line block ×14, first 2 shown]
	s_and_saveexec_b32 s2, vcc_lo
	s_cbranch_execz .LBB0_13
; %bb.12:
	ds_read_b128 v[188:191], v136 offset:6000
	ds_read_b128 v[0:3], v136 offset:12400
	;; [unrolled: 1-line block ×5, first 2 shown]
.LBB0_13:
	s_or_b32 exec_lo, exec_lo, s2
	v_mul_lo_u16 v60, v135, 41
	v_mul_lo_u16 v61, v139, 41
	v_mov_b32_e32 v72, 0x47af
	s_mov_b32 s12, 0x134454ff
	s_mov_b32 s13, 0x3fee6f0e
	v_lshrrev_b16 v200, 10, v60
	v_lshrrev_b16 v135, 10, v61
	s_mov_b32 s15, 0xbfee6f0e
	s_mov_b32 s14, s12
	v_mul_lo_u16 v60, v200, 25
	v_sub_nc_u16 v60, v212, v60
	v_and_b32_e32 v201, 0xff, v60
	v_lshlrev_b32_e32 v60, 6, v201
	s_clause 0x3
	global_load_dwordx4 v[156:159], v60, s[0:1] offset:320
	global_load_dwordx4 v[168:171], v60, s[0:1] offset:336
	global_load_dwordx4 v[164:167], v60, s[0:1] offset:352
	global_load_dwordx4 v[160:163], v60, s[0:1] offset:368
	v_mul_lo_u16 v60, v135, 25
	v_sub_nc_u16 v60, v134, v60
	v_and_b32_e32 v134, 0xff, v60
	v_lshlrev_b32_e32 v60, 6, v134
	s_clause 0x3
	global_load_dwordx4 v[152:155], v60, s[0:1] offset:320
	global_load_dwordx4 v[140:143], v60, s[0:1] offset:336
	;; [unrolled: 1-line block ×4, first 2 shown]
	s_waitcnt vmcnt(7) lgkmcnt(8)
	v_mul_f64 v[62:63], v[128:129], v[158:159]
	s_waitcnt vmcnt(6)
	v_mul_f64 v[64:65], v[58:59], v[170:171]
	v_mul_f64 v[66:67], v[56:57], v[170:171]
	;; [unrolled: 1-line block ×3, first 2 shown]
	v_fma_f64 v[62:63], v[130:131], v[156:157], v[62:63]
	v_fma_f64 v[64:65], v[56:57], v[168:169], -v[64:65]
	s_waitcnt vmcnt(5) lgkmcnt(4)
	v_mul_f64 v[56:57], v[126:127], v[166:167]
	v_fma_f64 v[66:67], v[58:59], v[168:169], v[66:67]
	v_mul_f64 v[58:59], v[124:125], v[166:167]
	v_fma_f64 v[60:61], v[128:129], v[156:157], -v[60:61]
	v_fma_f64 v[68:69], v[124:125], v[164:165], -v[56:57]
	s_waitcnt vmcnt(4)
	v_mul_f64 v[56:57], v[50:51], v[162:163]
	v_fma_f64 v[70:71], v[126:127], v[164:165], v[58:59]
	v_mul_f64 v[58:59], v[48:49], v[162:163]
	v_add_f64 v[210:211], v[64:65], -v[68:69]
	v_fma_f64 v[130:131], v[48:49], v[160:161], -v[56:57]
	s_waitcnt vmcnt(3)
	v_mul_f64 v[48:49], v[54:55], v[154:155]
	v_fma_f64 v[202:203], v[50:51], v[160:161], v[58:59]
	v_mul_f64 v[50:51], v[52:53], v[154:155]
	v_add_f64 v[204:205], v[60:61], -v[130:131]
	v_fma_f64 v[56:57], v[52:53], v[152:153], -v[48:49]
	s_waitcnt vmcnt(2)
	v_mul_f64 v[48:49], v[42:43], v[142:143]
	v_fma_f64 v[52:53], v[54:55], v[152:153], v[50:51]
	v_mul_f64 v[50:51], v[40:41], v[142:143]
	v_fma_f64 v[126:127], v[40:41], v[140:141], -v[48:49]
	s_waitcnt vmcnt(1) lgkmcnt(2)
	v_mul_f64 v[40:41], v[46:47], v[146:147]
	v_fma_f64 v[58:59], v[42:43], v[140:141], v[50:51]
	v_mul_f64 v[42:43], v[44:45], v[146:147]
	v_fma_f64 v[124:125], v[44:45], v[144:145], -v[40:41]
	s_waitcnt vmcnt(0)
	v_mul_f64 v[40:41], v[38:39], v[150:151]
	v_fma_f64 v[54:55], v[46:47], v[144:145], v[42:43]
	v_mul_f64 v[42:43], v[36:37], v[150:151]
	v_fma_f64 v[206:207], v[36:37], v[148:149], -v[40:41]
	v_mul_u32_u24_sdwa v36, v133, v72 dst_sel:DWORD dst_unused:UNUSED_PAD src0_sel:WORD_0 src1_sel:DWORD
	v_fma_f64 v[208:209], v[38:39], v[148:149], v[42:43]
	v_lshrrev_b32_e32 v36, 16, v36
	v_sub_nc_u16 v37, v133, v36
	v_lshrrev_b16 v37, 1, v37
	v_add_nc_u16 v36, v37, v36
	v_lshrrev_b16 v128, 4, v36
	v_mul_lo_u16 v36, v128, 25
	v_sub_nc_u16 v129, v133, v36
	v_lshlrev_b16 v36, 6, v129
	v_and_b32_e32 v36, 0xffff, v36
	v_add_co_u32 v44, s2, s0, v36
	v_add_co_ci_u32_e64 v45, null, s1, 0, s2
	s_clause 0x3
	global_load_dwordx4 v[180:183], v[44:45], off offset:320
	global_load_dwordx4 v[184:187], v[44:45], off offset:336
	;; [unrolled: 1-line block ×4, first 2 shown]
	s_waitcnt vmcnt(3)
	v_mul_f64 v[36:37], v[34:35], v[182:183]
	v_fma_f64 v[38:39], v[32:33], v[180:181], -v[36:37]
	v_mul_f64 v[32:33], v[32:33], v[182:183]
	v_fma_f64 v[36:37], v[34:35], v[180:181], v[32:33]
	s_waitcnt vmcnt(2)
	v_mul_f64 v[32:33], v[30:31], v[186:187]
	v_fma_f64 v[40:41], v[28:29], v[184:185], -v[32:33]
	v_mul_f64 v[28:29], v[28:29], v[186:187]
	v_fma_f64 v[42:43], v[30:31], v[184:185], v[28:29]
	s_waitcnt vmcnt(1) lgkmcnt(1)
	v_mul_f64 v[28:29], v[26:27], v[178:179]
	v_fma_f64 v[46:47], v[24:25], v[176:177], -v[28:29]
	v_mul_f64 v[24:25], v[24:25], v[178:179]
	v_fma_f64 v[44:45], v[26:27], v[176:177], v[24:25]
	s_waitcnt vmcnt(0) lgkmcnt(0)
	v_mul_f64 v[24:25], v[22:23], v[174:175]
	v_fma_f64 v[48:49], v[20:21], v[172:173], -v[24:25]
	v_mul_f64 v[20:21], v[20:21], v[174:175]
	v_fma_f64 v[50:51], v[22:23], v[172:173], v[20:21]
	v_mul_u32_u24_sdwa v20, v132, v72 dst_sel:DWORD dst_unused:UNUSED_PAD src0_sel:WORD_0 src1_sel:DWORD
	v_lshrrev_b32_e32 v20, 16, v20
	v_sub_nc_u16 v21, v132, v20
	v_lshrrev_b16 v21, 1, v21
	v_add_nc_u16 v20, v21, v20
	v_lshrrev_b16 v20, 4, v20
	v_mul_lo_u16 v20, v20, 25
	v_sub_nc_u16 v20, v132, v20
	buffer_store_dword v20, off, s[20:23], 0 offset:480 ; 4-byte Folded Spill
	v_lshlrev_b16 v20, 6, v20
	v_and_b32_e32 v20, 0xffff, v20
	v_add_co_u32 v28, s2, s0, v20
	v_add_co_ci_u32_e64 v29, null, s1, 0, s2
	s_clause 0x1
	global_load_dwordx4 v[22:25], v[28:29], off offset:320
	global_load_dwordx4 v[30:33], v[28:29], off offset:336
	s_mov_b32 s2, 0x4755a5e
	s_mov_b32 s3, 0x3fe2cf23
	;; [unrolled: 1-line block ×3, first 2 shown]
	s_waitcnt vmcnt(1)
	v_mul_f64 v[20:21], v[2:3], v[24:25]
	v_fma_f64 v[20:21], v[0:1], v[22:23], -v[20:21]
	v_mul_f64 v[0:1], v[0:1], v[24:25]
	buffer_store_dword v22, off, s[20:23], 0 offset:512 ; 4-byte Folded Spill
	buffer_store_dword v23, off, s[20:23], 0 offset:516 ; 4-byte Folded Spill
	;; [unrolled: 1-line block ×4, first 2 shown]
	v_fma_f64 v[26:27], v[2:3], v[22:23], v[0:1]
	s_waitcnt vmcnt(0)
	v_mul_f64 v[0:1], v[10:11], v[32:33]
	v_add_f64 v[2:3], v[130:131], -v[68:69]
	v_fma_f64 v[22:23], v[8:9], v[30:31], -v[0:1]
	v_mul_f64 v[0:1], v[8:9], v[32:33]
	buffer_store_dword v30, off, s[20:23], 0 offset:528 ; 4-byte Folded Spill
	buffer_store_dword v31, off, s[20:23], 0 offset:532 ; 4-byte Folded Spill
	buffer_store_dword v32, off, s[20:23], 0 offset:536 ; 4-byte Folded Spill
	buffer_store_dword v33, off, s[20:23], 0 offset:540 ; 4-byte Folded Spill
	v_fma_f64 v[24:25], v[10:11], v[30:31], v[0:1]
	s_clause 0x1
	global_load_dwordx4 v[8:11], v[28:29], off offset:352
	global_load_dwordx4 v[72:75], v[28:29], off offset:368
	s_waitcnt vmcnt(1)
	v_mul_f64 v[0:1], v[194:195], v[10:11]
	v_fma_f64 v[28:29], v[192:193], v[8:9], -v[0:1]
	v_mul_f64 v[0:1], v[192:193], v[10:11]
	buffer_store_dword v8, off, s[20:23], 0 offset:544 ; 4-byte Folded Spill
	buffer_store_dword v9, off, s[20:23], 0 offset:548 ; 4-byte Folded Spill
	;; [unrolled: 1-line block ×4, first 2 shown]
	v_add_f64 v[192:193], v[62:63], -v[202:203]
	v_fma_f64 v[32:33], v[194:195], v[8:9], v[0:1]
	s_waitcnt vmcnt(0)
	v_mul_f64 v[0:1], v[6:7], v[74:75]
	v_add_f64 v[194:195], v[66:67], -v[70:71]
	v_fma_f64 v[30:31], v[4:5], v[72:73], -v[0:1]
	v_mul_f64 v[0:1], v[4:5], v[74:75]
	buffer_store_dword v72, off, s[20:23], 0 offset:560 ; 4-byte Folded Spill
	buffer_store_dword v73, off, s[20:23], 0 offset:564 ; 4-byte Folded Spill
	;; [unrolled: 1-line block ×4, first 2 shown]
	s_waitcnt_vscnt null, 0x0
	s_barrier
	buffer_gl0_inv
	v_fma_f64 v[34:35], v[6:7], v[72:73], v[0:1]
	v_add_f64 v[0:1], v[60:61], -v[64:65]
	v_mov_b32_e32 v72, 0x7d
	v_add_f64 v[4:5], v[0:1], v[2:3]
	v_add_f64 v[0:1], v[62:63], -v[66:67]
	v_add_f64 v[2:3], v[202:203], -v[70:71]
	v_add_f64 v[6:7], v[0:1], v[2:3]
	v_add_f64 v[0:1], v[64:65], v[68:69]
	v_fma_f64 v[8:9], v[0:1], -0.5, v[16:17]
	v_add_f64 v[0:1], v[66:67], v[70:71]
	v_fma_f64 v[10:11], v[0:1], -0.5, v[18:19]
	v_fma_f64 v[0:1], v[192:193], s[12:13], v[8:9]
	v_fma_f64 v[8:9], v[192:193], s[14:15], v[8:9]
	;; [unrolled: 1-line block ×10, first 2 shown]
	v_add_f64 v[8:9], v[60:61], v[130:131]
	v_fma_f64 v[2:3], v[6:7], s[16:17], v[2:3]
	v_fma_f64 v[6:7], v[6:7], s[16:17], v[10:11]
	v_add_f64 v[10:11], v[62:63], v[202:203]
	v_fma_f64 v[8:9], v[8:9], -0.5, v[16:17]
	v_add_f64 v[16:17], v[16:17], v[60:61]
	v_add_f64 v[60:61], v[64:65], -v[60:61]
	v_fma_f64 v[10:11], v[10:11], -0.5, v[18:19]
	v_add_f64 v[18:19], v[18:19], v[62:63]
	v_add_f64 v[62:63], v[66:67], -v[62:63]
	v_add_f64 v[16:17], v[16:17], v[64:65]
	v_add_f64 v[64:65], v[68:69], -v[130:131]
	v_add_f64 v[18:19], v[18:19], v[66:67]
	v_fma_f64 v[66:67], v[210:211], s[12:13], v[10:11]
	v_add_f64 v[16:17], v[16:17], v[68:69]
	v_fma_f64 v[10:11], v[210:211], s[14:15], v[10:11]
	v_add_f64 v[60:61], v[60:61], v[64:65]
	v_add_f64 v[64:65], v[52:53], -v[208:209]
	v_add_f64 v[68:69], v[56:57], -v[206:207]
	v_add_f64 v[18:19], v[18:19], v[70:71]
	v_add_f64 v[130:131], v[16:17], v[130:131]
	v_add_f64 v[16:17], v[70:71], -v[202:203]
	v_fma_f64 v[10:11], v[204:205], s[2:3], v[10:11]
	v_add_f64 v[70:71], v[126:127], -v[124:125]
	v_add_f64 v[132:133], v[18:19], v[202:203]
	v_fma_f64 v[18:19], v[194:195], s[14:15], v[8:9]
	v_fma_f64 v[8:9], v[194:195], s[12:13], v[8:9]
	v_add_f64 v[16:17], v[62:63], v[16:17]
	v_fma_f64 v[62:63], v[204:205], s[4:5], v[66:67]
	v_add_f64 v[66:67], v[58:59], -v[54:55]
	v_fma_f64 v[18:19], v[192:193], s[2:3], v[18:19]
	v_fma_f64 v[8:9], v[192:193], s[4:5], v[8:9]
	;; [unrolled: 1-line block ×3, first 2 shown]
	v_add_f64 v[10:11], v[206:207], -v[124:125]
	v_fma_f64 v[194:195], v[16:17], s[16:17], v[62:63]
	v_fma_f64 v[192:193], v[60:61], s[16:17], v[18:19]
	v_fma_f64 v[202:203], v[60:61], s[16:17], v[8:9]
	v_add_f64 v[8:9], v[56:57], -v[126:127]
	v_add_f64 v[16:17], v[8:9], v[10:11]
	v_add_f64 v[8:9], v[52:53], -v[58:59]
	v_add_f64 v[10:11], v[208:209], -v[54:55]
	v_add_f64 v[18:19], v[8:9], v[10:11]
	v_add_f64 v[8:9], v[126:127], v[124:125]
	v_fma_f64 v[60:61], v[8:9], -0.5, v[12:13]
	v_add_f64 v[8:9], v[58:59], v[54:55]
	v_fma_f64 v[62:63], v[8:9], -0.5, v[14:15]
	v_fma_f64 v[8:9], v[64:65], s[12:13], v[60:61]
	v_fma_f64 v[60:61], v[64:65], s[14:15], v[60:61]
	;; [unrolled: 1-line block ×10, first 2 shown]
	v_add_f64 v[60:61], v[56:57], v[206:207]
	v_fma_f64 v[10:11], v[18:19], s[16:17], v[10:11]
	v_fma_f64 v[18:19], v[18:19], s[16:17], v[62:63]
	v_add_f64 v[62:63], v[52:53], v[208:209]
	v_fma_f64 v[60:61], v[60:61], -0.5, v[12:13]
	v_add_f64 v[12:13], v[12:13], v[56:57]
	v_add_f64 v[56:57], v[126:127], -v[56:57]
	v_fma_f64 v[62:63], v[62:63], -0.5, v[14:15]
	v_add_f64 v[14:15], v[14:15], v[52:53]
	v_add_f64 v[52:53], v[58:59], -v[52:53]
	v_add_f64 v[12:13], v[12:13], v[126:127]
	v_add_f64 v[14:15], v[14:15], v[58:59]
	v_add_f64 v[58:59], v[124:125], -v[206:207]
	v_add_f64 v[12:13], v[12:13], v[124:125]
	v_fma_f64 v[124:125], v[66:67], s[14:15], v[60:61]
	v_fma_f64 v[60:61], v[66:67], s[12:13], v[60:61]
	;; [unrolled: 1-line block ×4, first 2 shown]
	v_add_f64 v[14:15], v[14:15], v[54:55]
	v_add_f64 v[54:55], v[54:55], -v[208:209]
	v_add_f64 v[56:57], v[56:57], v[58:59]
	v_add_f64 v[12:13], v[12:13], v[206:207]
	v_fma_f64 v[60:61], v[64:65], s[4:5], v[60:61]
	v_fma_f64 v[62:63], v[68:69], s[2:3], v[62:63]
	v_add_f64 v[14:15], v[14:15], v[208:209]
	v_add_f64 v[58:59], v[52:53], v[54:55]
	v_fma_f64 v[52:53], v[64:65], s[2:3], v[124:125]
	v_fma_f64 v[54:55], v[68:69], s[4:5], v[66:67]
	v_add_f64 v[66:67], v[38:39], -v[48:49]
	v_add_f64 v[68:69], v[40:41], -v[46:47]
	v_fma_f64 v[52:53], v[56:57], s[16:17], v[52:53]
	v_fma_f64 v[56:57], v[56:57], s[16:17], v[60:61]
	v_mul_u32_u24_sdwa v60, v200, v72 dst_sel:DWORD dst_unused:UNUSED_PAD src0_sel:WORD_0 src1_sel:DWORD
	v_fma_f64 v[54:55], v[58:59], s[16:17], v[54:55]
	v_fma_f64 v[58:59], v[58:59], s[16:17], v[62:63]
	v_add_f64 v[62:63], v[42:43], -v[44:45]
	v_add_lshl_u32 v60, v60, v201, 4
	ds_write_b128 v60, v[130:133]
	ds_write_b128 v60, v[0:3] offset:400
	ds_write_b128 v60, v[192:195] offset:800
	;; [unrolled: 1-line block ×3, first 2 shown]
	v_add_f64 v[0:1], v[38:39], -v[40:41]
	v_add_f64 v[2:3], v[48:49], -v[46:47]
	ds_write_b128 v60, v[4:7] offset:1600
	v_add_f64 v[4:5], v[50:51], -v[44:45]
	v_add_f64 v[6:7], v[42:43], v[44:45]
	buffer_store_dword v60, off, s[20:23], 0 offset:500 ; 4-byte Folded Spill
	v_add_f64 v[60:61], v[36:37], -v[50:51]
	v_add_f64 v[0:1], v[0:1], v[2:3]
	v_add_f64 v[2:3], v[36:37], -v[42:43]
	v_fma_f64 v[6:7], v[6:7], -0.5, v[198:199]
	v_add_f64 v[2:3], v[2:3], v[4:5]
	v_add_f64 v[4:5], v[40:41], v[46:47]
	v_fma_f64 v[70:71], v[66:67], s[14:15], v[6:7]
	v_fma_f64 v[6:7], v[66:67], s[12:13], v[6:7]
	v_fma_f64 v[4:5], v[4:5], -0.5, v[196:197]
	v_fma_f64 v[70:71], v[68:69], s[4:5], v[70:71]
	v_fma_f64 v[6:7], v[68:69], s[2:3], v[6:7]
	;; [unrolled: 1-line block ×5, first 2 shown]
	v_add_f64 v[6:7], v[198:199], v[36:37]
	v_fma_f64 v[126:127], v[2:3], s[16:17], v[70:71]
	v_add_f64 v[2:3], v[36:37], v[50:51]
	v_fma_f64 v[64:65], v[62:63], s[2:3], v[64:65]
	v_fma_f64 v[4:5], v[62:63], s[4:5], v[4:5]
	v_add_f64 v[6:7], v[6:7], v[42:43]
	v_fma_f64 v[2:3], v[2:3], -0.5, v[198:199]
	v_fma_f64 v[124:125], v[0:1], s[16:17], v[64:65]
	v_fma_f64 v[130:131], v[0:1], s[16:17], v[4:5]
	v_add_f64 v[4:5], v[196:197], v[38:39]
	v_add_f64 v[0:1], v[38:39], v[48:49]
	;; [unrolled: 1-line block ×3, first 2 shown]
	v_add_f64 v[64:65], v[40:41], -v[38:39]
	v_add_f64 v[4:5], v[4:5], v[40:41]
	v_fma_f64 v[0:1], v[0:1], -0.5, v[196:197]
	v_add_f64 v[40:41], v[42:43], -v[36:37]
	v_add_f64 v[42:43], v[46:47], -v[48:49]
	v_add_f64 v[38:39], v[6:7], v[50:51]
	v_add_f64 v[4:5], v[4:5], v[46:47]
	v_fma_f64 v[6:7], v[62:63], s[14:15], v[0:1]
	v_fma_f64 v[0:1], v[62:63], s[12:13], v[0:1]
	v_add_f64 v[46:47], v[64:65], v[42:43]
	v_add_f64 v[62:63], v[20:21], -v[30:31]
	v_add_f64 v[64:65], v[22:23], -v[28:29]
	v_add_f64 v[36:37], v[4:5], v[48:49]
	v_add_f64 v[4:5], v[44:45], -v[50:51]
	v_fma_f64 v[44:45], v[68:69], s[12:13], v[2:3]
	v_fma_f64 v[2:3], v[68:69], s[14:15], v[2:3]
	;; [unrolled: 1-line block ×4, first 2 shown]
	v_add_f64 v[48:49], v[26:27], -v[34:35]
	v_add_f64 v[50:51], v[24:25], -v[32:33]
	v_add_f64 v[4:5], v[40:41], v[4:5]
	v_fma_f64 v[42:43], v[66:67], s[4:5], v[44:45]
	v_fma_f64 v[2:3], v[66:67], s[2:3], v[2:3]
	;; [unrolled: 1-line block ×4, first 2 shown]
	v_add_f64 v[0:1], v[20:21], -v[22:23]
	v_add_f64 v[6:7], v[24:25], v[32:33]
	v_fma_f64 v[42:43], v[4:5], s[16:17], v[42:43]
	v_fma_f64 v[46:47], v[4:5], s[16:17], v[2:3]
	v_add_f64 v[2:3], v[30:31], -v[28:29]
	v_add_f64 v[4:5], v[34:35], -v[32:33]
	v_fma_f64 v[6:7], v[6:7], -0.5, v[190:191]
	v_add_f64 v[0:1], v[0:1], v[2:3]
	v_add_f64 v[2:3], v[26:27], -v[24:25]
	v_fma_f64 v[66:67], v[62:63], s[14:15], v[6:7]
	v_fma_f64 v[6:7], v[62:63], s[12:13], v[6:7]
	v_add_f64 v[2:3], v[2:3], v[4:5]
	v_add_f64 v[4:5], v[22:23], v[28:29]
	v_fma_f64 v[66:67], v[64:65], s[4:5], v[66:67]
	v_fma_f64 v[6:7], v[64:65], s[2:3], v[6:7]
	v_fma_f64 v[4:5], v[4:5], -0.5, v[188:189]
	v_fma_f64 v[254:255], v[2:3], s[16:17], v[66:67]
	v_fma_f64 v[250:251], v[2:3], s[16:17], v[6:7]
	v_add_f64 v[2:3], v[28:29], -v[30:31]
	v_add_f64 v[6:7], v[26:27], v[34:35]
	v_fma_f64 v[60:61], v[48:49], s[12:13], v[4:5]
	v_fma_f64 v[4:5], v[48:49], s[14:15], v[4:5]
	v_fma_f64 v[6:7], v[6:7], -0.5, v[190:191]
	v_fma_f64 v[60:61], v[50:51], s[2:3], v[60:61]
	v_fma_f64 v[4:5], v[50:51], s[4:5], v[4:5]
	;; [unrolled: 1-line block ×4, first 2 shown]
	v_add_f64 v[0:1], v[22:23], -v[20:21]
	v_add_f64 v[60:61], v[24:25], -v[26:27]
	v_add_f64 v[0:1], v[0:1], v[2:3]
	v_add_f64 v[2:3], v[20:21], v[30:31]
	v_fma_f64 v[2:3], v[2:3], -0.5, v[188:189]
	v_fma_f64 v[4:5], v[50:51], s[14:15], v[2:3]
	v_fma_f64 v[2:3], v[50:51], s[12:13], v[2:3]
	;; [unrolled: 1-line block ×4, first 2 shown]
	v_add_f64 v[64:65], v[32:33], -v[34:35]
	v_fma_f64 v[4:5], v[48:49], s[2:3], v[4:5]
	v_fma_f64 v[2:3], v[48:49], s[4:5], v[2:3]
	;; [unrolled: 1-line block ×4, first 2 shown]
	v_add_f64 v[60:61], v[60:61], v[64:65]
	v_fma_f64 v[4:5], v[0:1], s[16:17], v[4:5]
	v_fma_f64 v[0:1], v[0:1], s[16:17], v[2:3]
	;; [unrolled: 1-line block ×4, first 2 shown]
	v_mul_u32_u24_sdwa v48, v135, v72 dst_sel:DWORD dst_unused:UNUSED_PAD src0_sel:WORD_0 src1_sel:DWORD
	v_add_lshl_u32 v48, v48, v134, 4
	ds_write_b128 v48, v[12:15]
	ds_write_b128 v48, v[8:11] offset:400
	ds_write_b128 v48, v[52:55] offset:800
	;; [unrolled: 1-line block ×3, first 2 shown]
	v_mad_u16 v9, 0x7d, v128, v129
	v_mov_b32_e32 v8, 4
	buffer_store_dword v48, off, s[20:23], 0 offset:504 ; 4-byte Folded Spill
	ds_write_b128 v48, v[16:19] offset:1600
	v_lshlrev_b32_sdwa v139, v8, v9 dst_sel:DWORD dst_unused:UNUSED_PAD src0_sel:DWORD src1_sel:WORD_0
	ds_write_b128 v139, v[36:39]
	ds_write_b128 v139, v[124:127] offset:400
	ds_write_b128 v139, v[40:43] offset:800
	;; [unrolled: 1-line block ×4, first 2 shown]
	s_and_saveexec_b32 s2, vcc_lo
	s_cbranch_execz .LBB0_15
; %bb.14:
	v_add_f64 v[9:10], v[190:191], v[26:27]
	v_add_f64 v[11:12], v[188:189], v[20:21]
	;; [unrolled: 1-line block ×8, first 2 shown]
	buffer_load_dword v13, off, s[20:23], 0 offset:480 ; 4-byte Folded Reload
	s_waitcnt vmcnt(0)
	v_lshlrev_b32_sdwa v8, v8, v13 dst_sel:DWORD dst_unused:UNUSED_PAD src0_sel:DWORD src1_sel:WORD_0
	ds_write_b128 v8, v[252:255] offset:30400
	ds_write_b128 v8, v[4:7] offset:30800
	;; [unrolled: 1-line block ×5, first 2 shown]
.LBB0_15:
	s_or_b32 exec_lo, exec_lo, s2
	v_mad_u64_u32 v[8:9], null, 0xf0, v212, s[0:1]
	buffer_store_dword v212, off, s[20:23], 0 offset:48 ; 4-byte Folded Spill
	s_waitcnt lgkmcnt(0)
	s_waitcnt_vscnt null, 0x0
	s_barrier
	buffer_gl0_inv
	s_mov_b32 s3, 0x3fe6a09e
	s_mov_b32 s12, 0xa6aea964
	s_clause 0x6
	global_load_dwordx4 v[200:203], v[8:9], off offset:1920
	global_load_dwordx4 v[192:195], v[8:9], off offset:1936
	;; [unrolled: 1-line block ×7, first 2 shown]
	v_add_co_u32 v10, s0, 0x800, v8
	v_add_co_ci_u32_e64 v11, s0, 0, v9, s0
	v_add_co_u32 v48, s0, 0x840, v8
	s_clause 0x2
	global_load_dwordx4 v[220:223], v[8:9], off offset:2032
	global_load_dwordx4 v[216:219], v[10:11], off offset:48
	;; [unrolled: 1-line block ×3, first 2 shown]
	v_add_co_ci_u32_e64 v49, s0, 0, v9, s0
	s_clause 0x3
	global_load_dwordx4 v[228:231], v[48:49], off offset:16
	global_load_dwordx4 v[232:235], v[10:11], off
	global_load_dwordx4 v[236:239], v[10:11], off offset:64
	global_load_dwordx4 v[240:243], v[10:11], off offset:32
	ds_read_b128 v[8:11], v136 offset:2000
	ds_read_b128 v[12:15], v136 offset:4000
	;; [unrolled: 1-line block ×5, first 2 shown]
	ds_read_b128 v[28:31], v136
	ds_read_b128 v[32:35], v136 offset:12000
	ds_read_b128 v[36:39], v136 offset:14000
	;; [unrolled: 1-line block ×4, first 2 shown]
	s_mov_b32 s0, 0x667f3bcd
	s_mov_b32 s1, 0xbfe6a09e
	;; [unrolled: 1-line block ×10, first 2 shown]
	s_waitcnt vmcnt(13) lgkmcnt(9)
	v_mul_f64 v[50:51], v[10:11], v[202:203]
	v_mul_f64 v[52:53], v[8:9], v[202:203]
	s_waitcnt vmcnt(12) lgkmcnt(8)
	v_mul_f64 v[54:55], v[14:15], v[194:195]
	v_mul_f64 v[56:57], v[12:13], v[194:195]
	s_waitcnt vmcnt(10) lgkmcnt(6)
	v_mul_f64 v[62:63], v[22:23], v[198:199]
	v_mul_f64 v[64:65], v[20:21], v[198:199]
	s_waitcnt vmcnt(9) lgkmcnt(5)
	v_mul_f64 v[66:67], v[26:27], v[210:211]
	v_mul_f64 v[58:59], v[18:19], v[190:191]
	v_mul_f64 v[60:61], v[16:17], v[190:191]
	v_mul_f64 v[68:69], v[24:25], v[210:211]
	s_waitcnt vmcnt(8) lgkmcnt(3)
	v_mul_f64 v[70:71], v[34:35], v[206:207]
	v_fma_f64 v[124:125], v[8:9], v[200:201], -v[50:51]
	v_fma_f64 v[126:127], v[10:11], v[200:201], v[52:53]
	ds_read_b128 v[8:11], v136 offset:18000
	v_mul_f64 v[50:51], v[32:33], v[206:207]
	s_waitcnt vmcnt(7) lgkmcnt(3)
	v_mul_f64 v[52:53], v[38:39], v[214:215]
	v_fma_f64 v[128:129], v[12:13], v[192:193], -v[54:55]
	v_fma_f64 v[56:57], v[14:15], v[192:193], v[56:57]
	v_mul_f64 v[54:55], v[36:37], v[214:215]
	v_fma_f64 v[62:63], v[20:21], v[196:197], -v[62:63]
	v_fma_f64 v[64:65], v[22:23], v[196:197], v[64:65]
	ds_read_b128 v[12:15], v136 offset:26000
	s_waitcnt vmcnt(6) lgkmcnt(2)
	v_mul_f64 v[20:21], v[46:47], v[222:223]
	v_fma_f64 v[66:67], v[24:25], v[208:209], -v[66:67]
	v_mul_f64 v[22:23], v[44:45], v[222:223]
	s_waitcnt vmcnt(5)
	v_mul_f64 v[24:25], v[42:43], v[218:219]
	v_fma_f64 v[58:59], v[16:17], v[188:189], -v[58:59]
	v_fma_f64 v[60:61], v[18:19], v[188:189], v[60:61]
	ds_read_b128 v[16:19], v136 offset:20000
	v_fma_f64 v[68:69], v[26:27], v[208:209], v[68:69]
	v_fma_f64 v[70:71], v[32:33], v[204:205], -v[70:71]
	v_mul_f64 v[26:27], v[40:41], v[218:219]
	v_fma_f64 v[130:131], v[34:35], v[204:205], v[50:51]
	v_fma_f64 v[132:133], v[36:37], v[212:213], -v[52:53]
	v_fma_f64 v[134:135], v[38:39], v[212:213], v[54:55]
	v_fma_f64 v[32:33], v[44:45], v[220:221], -v[20:21]
	v_fma_f64 v[34:35], v[46:47], v[220:221], v[22:23]
	ds_read_b128 v[20:23], v136 offset:22000
	s_waitcnt vmcnt(4) lgkmcnt(1)
	v_mul_f64 v[36:37], v[18:19], v[226:227]
	v_fma_f64 v[38:39], v[40:41], v[216:217], -v[24:25]
	v_mul_f64 v[24:25], v[16:17], v[226:227]
	v_fma_f64 v[40:41], v[42:43], v[216:217], v[26:27]
	v_fma_f64 v[36:37], v[16:17], v[224:225], -v[36:37]
	v_fma_f64 v[42:43], v[18:19], v[224:225], v[24:25]
	ds_read_b128 v[16:19], v136 offset:28000
	ds_read_b128 v[24:27], v136 offset:30000
	global_load_dwordx4 v[244:247], v[48:49], off offset:32
	s_waitcnt vmcnt(4) lgkmcnt(1)
	v_mul_f64 v[44:45], v[18:19], v[230:231]
	v_fma_f64 v[44:45], v[16:17], v[228:229], -v[44:45]
	v_mul_f64 v[16:17], v[16:17], v[230:231]
	v_add_f64 v[44:45], v[70:71], -v[44:45]
	v_fma_f64 v[46:47], v[18:19], v[228:229], v[16:17]
	s_waitcnt vmcnt(3)
	v_mul_f64 v[16:17], v[10:11], v[234:235]
	v_add_f64 v[18:19], v[56:57], -v[42:43]
	v_add_f64 v[48:49], v[130:131], -v[46:47]
	v_fma_f64 v[50:51], v[8:9], v[232:233], -v[16:17]
	v_mul_f64 v[8:9], v[8:9], v[234:235]
	v_add_f64 v[16:17], v[128:129], -v[36:37]
	v_add_f64 v[80:81], v[18:19], v[44:45]
	v_fma_f64 v[52:53], v[10:11], v[232:233], v[8:9]
	s_waitcnt vmcnt(2)
	v_mul_f64 v[8:9], v[14:15], v[238:239]
	v_add_f64 v[10:11], v[64:65], -v[40:41]
	v_fma_f64 v[54:55], v[12:13], v[236:237], -v[8:9]
	v_mul_f64 v[8:9], v[12:13], v[238:239]
	v_add_f64 v[12:13], v[28:29], -v[32:33]
	v_fma_f64 v[64:65], v[64:65], 2.0, -v[10:11]
	v_fma_f64 v[32:33], v[128:129], 2.0, -v[16:17]
	v_add_f64 v[46:47], v[66:67], -v[54:55]
	v_fma_f64 v[72:73], v[14:15], v[236:237], v[8:9]
	s_waitcnt vmcnt(1)
	v_mul_f64 v[8:9], v[22:23], v[242:243]
	v_add_f64 v[14:15], v[30:31], -v[34:35]
	v_fma_f64 v[28:29], v[28:29], 2.0, -v[12:13]
	v_fma_f64 v[34:35], v[56:57], 2.0, -v[18:19]
	;; [unrolled: 1-line block ×4, first 2 shown]
	v_add_f64 v[48:49], v[16:17], -v[48:49]
	v_fma_f64 v[66:67], v[66:67], 2.0, -v[46:47]
	v_fma_f64 v[74:75], v[20:21], v[240:241], -v[8:9]
	v_mul_f64 v[8:9], v[20:21], v[242:243]
	v_add_f64 v[20:21], v[126:127], -v[52:53]
	v_fma_f64 v[30:31], v[30:31], 2.0, -v[14:15]
	v_add_f64 v[70:71], v[34:35], -v[70:71]
	v_fma_f64 v[22:23], v[22:23], v[240:241], v[8:9]
	v_add_f64 v[82:83], v[20:21], v[46:47]
	v_add_f64 v[64:65], v[30:31], -v[64:65]
	v_add_f64 v[22:23], v[60:61], -v[22:23]
	v_fma_f64 v[42:43], v[60:61], 2.0, -v[22:23]
	s_waitcnt vmcnt(0) lgkmcnt(0)
	v_mul_f64 v[8:9], v[24:25], v[246:247]
	v_fma_f64 v[76:77], v[26:27], v[244:245], v[8:9]
	v_mul_f64 v[8:9], v[26:27], v[246:247]
	v_add_f64 v[26:27], v[58:59], -v[74:75]
	v_add_f64 v[54:55], v[134:135], -v[76:77]
	v_fma_f64 v[78:79], v[24:25], v[244:245], -v[8:9]
	v_add_f64 v[8:9], v[62:63], -v[38:39]
	v_add_f64 v[24:25], v[124:125], -v[50:51]
	;; [unrolled: 1-line block ×3, first 2 shown]
	v_fma_f64 v[40:41], v[58:59], 2.0, -v[26:27]
	v_fma_f64 v[38:39], v[126:127], 2.0, -v[20:21]
	v_add_f64 v[72:73], v[32:33], -v[56:57]
	v_fma_f64 v[58:59], v[134:135], 2.0, -v[54:55]
	v_add_f64 v[52:53], v[132:133], -v[78:79]
	v_fma_f64 v[62:63], v[62:63], 2.0, -v[8:9]
	v_fma_f64 v[36:37], v[124:125], 2.0, -v[24:25]
	;; [unrolled: 1-line block ×3, first 2 shown]
	v_add_f64 v[50:51], v[24:25], -v[50:51]
	v_add_f64 v[54:55], v[26:27], -v[54:55]
	;; [unrolled: 1-line block ×3, first 2 shown]
	v_fma_f64 v[60:61], v[132:133], 2.0, -v[52:53]
	v_add_f64 v[62:63], v[28:29], -v[62:63]
	v_add_f64 v[66:67], v[36:37], -v[66:67]
	;; [unrolled: 1-line block ×3, first 2 shown]
	v_add_f64 v[58:59], v[64:65], v[72:73]
	v_add_f64 v[52:53], v[22:23], v[52:53]
	v_fma_f64 v[24:25], v[24:25], 2.0, -v[50:51]
	v_fma_f64 v[26:27], v[26:27], 2.0, -v[54:55]
	v_add_f64 v[60:61], v[40:41], -v[60:61]
	v_add_f64 v[56:57], v[62:63], -v[70:71]
	;; [unrolled: 1-line block ×3, first 2 shown]
	v_fma_f64 v[36:37], v[36:37], 2.0, -v[66:67]
	v_fma_f64 v[134:135], v[64:65], 2.0, -v[58:59]
	;; [unrolled: 1-line block ×5, first 2 shown]
	v_add_f64 v[78:79], v[68:69], v[60:61]
	v_fma_f64 v[132:133], v[62:63], 2.0, -v[56:57]
	v_fma_f64 v[124:125], v[76:77], s[2:3], v[56:57]
	v_fma_f64 v[62:63], v[28:29], 2.0, -v[62:63]
	v_fma_f64 v[28:29], v[32:33], 2.0, -v[72:73]
	;; [unrolled: 1-line block ×4, first 2 shown]
	v_add_f64 v[42:43], v[64:65], -v[30:31]
	v_fma_f64 v[126:127], v[78:79], s[2:3], v[58:59]
	v_fma_f64 v[124:125], v[78:79], s[0:1], v[124:125]
	v_fma_f64 v[78:79], v[68:69], 2.0, -v[78:79]
	v_add_f64 v[40:41], v[62:63], -v[28:29]
	v_add_f64 v[60:61], v[38:39], -v[32:33]
	v_fma_f64 v[126:127], v[76:77], s[2:3], v[126:127]
	v_fma_f64 v[76:77], v[66:67], 2.0, -v[76:77]
	v_add_f64 v[66:67], v[36:37], -v[34:35]
	v_fma_f64 v[130:131], v[78:79], s[0:1], v[134:135]
	v_add_f64 v[28:29], v[40:41], -v[60:61]
	ds_write_b128 v136, v[124:127] offset:28000
	v_fma_f64 v[128:129], v[76:77], s[0:1], v[132:133]
	v_add_f64 v[30:31], v[42:43], v[66:67]
	v_fma_f64 v[130:131], v[76:77], s[2:3], v[130:131]
	v_add_f64 v[76:77], v[12:13], -v[10:11]
	v_fma_f64 v[32:33], v[40:41], 2.0, -v[28:29]
	v_fma_f64 v[40:41], v[62:63], 2.0, -v[40:41]
	v_fma_f64 v[128:129], v[78:79], s[0:1], v[128:129]
	v_add_f64 v[78:79], v[14:15], v[8:9]
	v_fma_f64 v[34:35], v[42:43], 2.0, -v[30:31]
	v_fma_f64 v[8:9], v[48:49], s[2:3], v[76:77]
	ds_write_b128 v136, v[28:31] offset:24000
	v_fma_f64 v[28:29], v[12:13], 2.0, -v[76:77]
	v_fma_f64 v[12:13], v[16:17], 2.0, -v[48:49]
	;; [unrolled: 1-line block ×3, first 2 shown]
	v_fma_f64 v[20:21], v[26:27], s[0:1], v[24:25]
	v_fma_f64 v[42:43], v[64:65], 2.0, -v[42:43]
	v_fma_f64 v[30:31], v[14:15], 2.0, -v[78:79]
	;; [unrolled: 1-line block ×3, first 2 shown]
	v_fma_f64 v[84:85], v[80:81], s[0:1], v[8:9]
	v_fma_f64 v[8:9], v[80:81], s[2:3], v[78:79]
	v_fma_f64 v[18:19], v[22:23], 2.0, -v[52:53]
	v_fma_f64 v[22:23], v[14:15], s[0:1], v[30:31]
	v_fma_f64 v[90:91], v[76:77], 2.0, -v[84:85]
	v_fma_f64 v[86:87], v[48:49], s[2:3], v[8:9]
	v_fma_f64 v[8:9], v[54:55], s[2:3], v[50:51]
	;; [unrolled: 1-line block ×4, first 2 shown]
	v_fma_f64 v[92:93], v[78:79], 2.0, -v[86:87]
	v_fma_f64 v[44:45], v[52:53], s[0:1], v[8:9]
	v_fma_f64 v[8:9], v[52:53], s[2:3], v[82:83]
	;; [unrolled: 1-line block ×3, first 2 shown]
	v_fma_f64 v[26:27], v[58:59], 2.0, -v[126:127]
	v_fma_f64 v[88:89], v[50:51], 2.0, -v[44:45]
	v_fma_f64 v[46:47], v[54:55], s[2:3], v[8:9]
	v_fma_f64 v[54:55], v[12:13], s[2:3], v[22:23]
	;; [unrolled: 1-line block ×3, first 2 shown]
	v_fma_f64 v[22:23], v[24:25], 2.0, -v[20:21]
	v_fma_f64 v[16:17], v[16:17], 2.0, -v[18:19]
	v_fma_f64 v[8:9], v[44:45], s[16:17], v[84:85]
	v_fma_f64 v[10:11], v[46:47], s[16:17], v[86:87]
	v_fma_f64 v[70:71], v[30:31], 2.0, -v[54:55]
	v_fma_f64 v[52:53], v[14:15], s[0:1], v[12:13]
	v_fma_f64 v[12:13], v[18:19], s[14:15], v[54:55]
	;; [unrolled: 1-line block ×4, first 2 shown]
	v_fma_f64 v[44:45], v[82:83], 2.0, -v[46:47]
	v_fma_f64 v[24:25], v[20:21], s[14:15], v[52:53]
	v_fma_f64 v[68:69], v[28:29], 2.0, -v[52:53]
	v_fma_f64 v[14:15], v[20:21], s[16:17], v[12:13]
	v_fma_f64 v[20:21], v[16:17], s[4:5], v[70:71]
	;; [unrolled: 1-line block ×3, first 2 shown]
	v_fma_f64 v[28:29], v[84:85], 2.0, -v[8:9]
	v_fma_f64 v[30:31], v[86:87], 2.0, -v[10:11]
	v_fma_f64 v[94:95], v[44:45], s[12:13], v[92:93]
	v_fma_f64 v[12:13], v[18:19], s[4:5], v[24:25]
	v_fma_f64 v[18:19], v[22:23], s[4:5], v[68:69]
	v_fma_f64 v[24:25], v[56:57], 2.0, -v[124:125]
	v_fma_f64 v[54:55], v[54:55], 2.0, -v[14:15]
	v_fma_f64 v[44:45], v[44:45], s[4:5], v[46:47]
	v_fma_f64 v[46:47], v[88:89], s[16:17], v[94:95]
	v_fma_f64 v[52:53], v[52:53], 2.0, -v[12:13]
	v_fma_f64 v[16:17], v[16:17], s[12:13], v[18:19]
	v_fma_f64 v[18:19], v[22:23], s[14:15], v[20:21]
	v_fma_f64 v[20:21], v[36:37], 2.0, -v[66:67]
	v_fma_f64 v[22:23], v[38:39], 2.0, -v[60:61]
	;; [unrolled: 1-line block ×3, first 2 shown]
	v_add_co_u32 v60, s0, 0x7800, v137
	v_add_co_ci_u32_e64 v61, s0, 0, v138, s0
	v_fma_f64 v[50:51], v[92:93], 2.0, -v[46:47]
	v_fma_f64 v[56:57], v[68:69], 2.0, -v[16:17]
	;; [unrolled: 1-line block ×3, first 2 shown]
	v_add_f64 v[20:21], v[40:41], -v[20:21]
	v_add_f64 v[22:23], v[42:43], -v[22:23]
	v_fma_f64 v[36:37], v[40:41], 2.0, -v[20:21]
	v_fma_f64 v[38:39], v[42:43], 2.0, -v[22:23]
	;; [unrolled: 1-line block ×4, first 2 shown]
	ds_write_b128 v136, v[8:11] offset:30000
	ds_write_b128 v136, v[32:35] offset:8000
	;; [unrolled: 1-line block ×8, first 2 shown]
	ds_write_b128 v136, v[36:39]
	ds_write_b128 v136, v[40:43] offset:4000
	ds_write_b128 v136, v[48:51] offset:6000
	;; [unrolled: 1-line block ×5, first 2 shown]
	s_waitcnt lgkmcnt(0)
	s_barrier
	buffer_gl0_inv
	buffer_store_dword v60, off, s[20:23], 0 offset:576 ; 4-byte Folded Spill
	buffer_store_dword v61, off, s[20:23], 0 offset:580 ; 4-byte Folded Spill
	v_add_co_u32 v12, s0, 0x9000, v137
	v_add_co_ci_u32_e64 v13, s0, 0, v138, s0
	global_load_dwordx4 v[18:21], v[12:13], off offset:1536
	v_add_co_u32 v12, s0, 0xa800, v137
	v_add_co_ci_u32_e64 v13, s0, 0, v138, s0
	v_add_co_u32 v58, s0, 0xc800, v137
	v_add_co_ci_u32_e64 v59, s0, 0, v138, s0
	global_load_dwordx4 v[22:25], v[12:13], off offset:1792
	v_add_co_u32 v12, s0, 0xe000, v137
	v_add_co_ci_u32_e64 v13, s0, 0, v138, s0
	s_clause 0x1
	global_load_dwordx4 v[26:29], v[58:59], off
	global_load_dwordx4 v[30:33], v[12:13], off offset:256
	v_add_co_u32 v12, s0, 0x7d00, v137
	v_add_co_ci_u32_e64 v13, s0, 0, v138, s0
	s_clause 0x1
	global_load_dwordx4 v[34:37], v[12:13], off offset:2000
	global_load_dwordx4 v[14:17], v[60:61], off offset:1280
	ds_read_b128 v[38:41], v136
	ds_read_b128 v[42:45], v136 offset:2000
	ds_read_b128 v[46:49], v136 offset:6400
	;; [unrolled: 1-line block ×3, first 2 shown]
	s_waitcnt vmcnt(5) lgkmcnt(1)
	v_mul_f64 v[60:61], v[48:49], v[20:21]
	v_mul_f64 v[20:21], v[46:47], v[20:21]
	v_fma_f64 v[46:47], v[46:47], v[18:19], -v[60:61]
	v_fma_f64 v[48:49], v[48:49], v[18:19], v[20:21]
	s_waitcnt vmcnt(0)
	v_mul_f64 v[54:55], v[40:41], v[16:17]
	v_mul_f64 v[16:17], v[38:39], v[16:17]
	v_fma_f64 v[38:39], v[38:39], v[14:15], -v[54:55]
	v_fma_f64 v[40:41], v[40:41], v[14:15], v[16:17]
	ds_read_b128 v[14:17], v136 offset:12800
	ds_read_b128 v[54:57], v136 offset:14800
	;; [unrolled: 1-line block ×3, first 2 shown]
	global_load_dwordx4 v[124:127], v[58:59], off offset:2000
	ds_read_b128 v[128:131], v136 offset:27600
	s_waitcnt lgkmcnt(3)
	v_mul_f64 v[60:61], v[16:17], v[24:25]
	v_mul_f64 v[24:25], v[14:15], v[24:25]
	v_fma_f64 v[14:15], v[14:15], v[22:23], -v[60:61]
	v_fma_f64 v[16:17], v[16:17], v[22:23], v[24:25]
	ds_read_b128 v[22:25], v136 offset:16800
	s_waitcnt lgkmcnt(2)
	v_mul_f64 v[60:61], v[20:21], v[28:29]
	v_mul_f64 v[28:29], v[18:19], v[28:29]
	v_fma_f64 v[18:19], v[18:19], v[26:27], -v[60:61]
	v_fma_f64 v[20:21], v[20:21], v[26:27], v[28:29]
	;; [unrolled: 6-line block ×3, first 2 shown]
	v_mul_f64 v[30:31], v[44:45], v[36:37]
	v_mul_f64 v[32:33], v[42:43], v[36:37]
	v_fma_f64 v[30:31], v[42:43], v[34:35], -v[30:31]
	v_fma_f64 v[32:33], v[44:45], v[34:35], v[32:33]
	v_add_co_u32 v34, s0, 0x9800, v137
	v_add_co_ci_u32_e64 v35, s0, 0, v138, s0
	v_add_co_u32 v42, s0, 0xb000, v137
	v_add_co_ci_u32_e64 v43, s0, 0, v138, s0
	s_clause 0x1
	global_load_dwordx4 v[34:37], v[34:35], off offset:1488
	global_load_dwordx4 v[42:45], v[42:43], off offset:1744
	ds_read_b128 v[132:135], v136 offset:8400
	ds_read_b128 v[58:61], v136 offset:10400
	s_waitcnt vmcnt(1) lgkmcnt(1)
	v_mul_f64 v[62:63], v[134:135], v[36:37]
	v_mul_f64 v[36:37], v[132:133], v[36:37]
	v_fma_f64 v[132:133], v[132:133], v[34:35], -v[62:63]
	v_fma_f64 v[134:135], v[134:135], v[34:35], v[36:37]
	s_waitcnt vmcnt(0)
	v_mul_f64 v[34:35], v[56:57], v[44:45]
	v_mul_f64 v[36:37], v[54:55], v[44:45]
	v_fma_f64 v[34:35], v[54:55], v[42:43], -v[34:35]
	v_fma_f64 v[36:37], v[56:57], v[42:43], v[36:37]
	ds_read_b128 v[42:45], v136 offset:21200
	ds_read_b128 v[54:57], v136 offset:23200
	s_waitcnt lgkmcnt(1)
	v_mul_f64 v[62:63], v[44:45], v[126:127]
	v_mul_f64 v[64:65], v[42:43], v[126:127]
	v_fma_f64 v[42:43], v[42:43], v[124:125], -v[62:63]
	v_add_co_u32 v62, s0, 0xe800, v137
	v_add_co_ci_u32_e64 v63, s0, 0, v138, s0
	v_fma_f64 v[44:45], v[44:45], v[124:125], v[64:65]
	v_add_co_u32 v64, s0, 0x8800, v137
	v_add_co_ci_u32_e64 v65, s0, 0, v138, s0
	s_clause 0x1
	global_load_dwordx4 v[124:127], v[62:63], off offset:208
	global_load_dwordx4 v[62:65], v[64:65], off offset:1184
	s_waitcnt vmcnt(1)
	v_mul_f64 v[66:67], v[130:131], v[126:127]
	v_mul_f64 v[68:69], v[128:129], v[126:127]
	v_fma_f64 v[126:127], v[128:129], v[124:125], -v[66:67]
	s_waitcnt vmcnt(0)
	v_mul_f64 v[66:67], v[52:53], v[64:65]
	v_mul_f64 v[64:65], v[50:51], v[64:65]
	v_fma_f64 v[128:129], v[130:131], v[124:125], v[68:69]
	v_fma_f64 v[50:51], v[50:51], v[62:63], -v[66:67]
	v_fma_f64 v[52:53], v[52:53], v[62:63], v[64:65]
	v_add_co_u32 v62, s0, 0xa000, v137
	v_add_co_ci_u32_e64 v63, s0, 0, v138, s0
	v_add_co_u32 v66, s0, 0xb800, v137
	v_add_co_ci_u32_e64 v67, s0, 0, v138, s0
	s_clause 0x1
	global_load_dwordx4 v[62:65], v[62:63], off offset:1440
	global_load_dwordx4 v[66:69], v[66:67], off offset:1696
	s_waitcnt vmcnt(1)
	v_mul_f64 v[70:71], v[60:61], v[64:65]
	v_mul_f64 v[64:65], v[58:59], v[64:65]
	v_fma_f64 v[58:59], v[58:59], v[62:63], -v[70:71]
	v_fma_f64 v[60:61], v[60:61], v[62:63], v[64:65]
	s_waitcnt vmcnt(0)
	v_mul_f64 v[62:63], v[24:25], v[68:69]
	v_mul_f64 v[64:65], v[22:23], v[68:69]
	v_fma_f64 v[22:23], v[22:23], v[66:67], -v[62:63]
	v_add_co_u32 v62, s0, 0xd000, v137
	v_add_co_ci_u32_e64 v63, s0, 0, v138, s0
	v_fma_f64 v[24:25], v[24:25], v[66:67], v[64:65]
	v_add_co_u32 v66, s0, 0xf000, v137
	v_add_co_ci_u32_e64 v67, s0, 0, v138, s0
	s_clause 0x1
	global_load_dwordx4 v[62:65], v[62:63], off offset:1952
	global_load_dwordx4 v[66:69], v[66:67], off offset:160
	s_waitcnt vmcnt(1) lgkmcnt(0)
	v_mul_f64 v[70:71], v[56:57], v[64:65]
	v_mul_f64 v[64:65], v[54:55], v[64:65]
	v_fma_f64 v[54:55], v[54:55], v[62:63], -v[70:71]
	v_fma_f64 v[56:57], v[56:57], v[62:63], v[64:65]
	ds_read_b128 v[62:65], v136 offset:29600
	s_waitcnt vmcnt(0) lgkmcnt(0)
	v_mul_f64 v[70:71], v[64:65], v[68:69]
	v_mul_f64 v[68:69], v[62:63], v[68:69]
	v_fma_f64 v[62:63], v[62:63], v[66:67], -v[70:71]
	v_fma_f64 v[64:65], v[64:65], v[66:67], v[68:69]
	ds_write_b128 v136, v[38:41]
	ds_write_b128 v136, v[46:49] offset:6400
	ds_write_b128 v136, v[14:17] offset:12800
	;; [unrolled: 1-line block ×14, first 2 shown]
	s_and_saveexec_b32 s1, vcc_lo
	s_cbranch_execz .LBB0_17
; %bb.16:
	v_add_co_u32 v14, s0, 0x1000, v12
	v_add_co_ci_u32_e64 v15, s0, 0, v13, s0
	v_add_co_u32 v18, s0, 0x3000, v12
	v_add_co_ci_u32_e64 v19, s0, 0, v13, s0
	;; [unrolled: 2-line block ×4, first 2 shown]
	v_add_co_u32 v12, s0, 0x7800, v12
	s_clause 0x1
	global_load_dwordx4 v[14:17], v[14:15], off offset:1904
	global_load_dwordx4 v[18:21], v[18:19], off offset:112
	v_add_co_ci_u32_e64 v13, s0, 0, v13, s0
	s_clause 0x2
	global_load_dwordx4 v[22:25], v[22:23], off offset:368
	global_load_dwordx4 v[26:29], v[26:27], off offset:624
	;; [unrolled: 1-line block ×3, first 2 shown]
	ds_read_b128 v[34:37], v136 offset:6000
	ds_read_b128 v[38:41], v136 offset:12400
	;; [unrolled: 1-line block ×5, first 2 shown]
	s_waitcnt vmcnt(4) lgkmcnt(4)
	v_mul_f64 v[12:13], v[36:37], v[16:17]
	v_mul_f64 v[16:17], v[34:35], v[16:17]
	s_waitcnt vmcnt(3) lgkmcnt(3)
	v_mul_f64 v[54:55], v[40:41], v[20:21]
	v_mul_f64 v[20:21], v[38:39], v[20:21]
	;; [unrolled: 3-line block ×5, first 2 shown]
	v_fma_f64 v[12:13], v[34:35], v[14:15], -v[12:13]
	v_fma_f64 v[14:15], v[36:37], v[14:15], v[16:17]
	v_fma_f64 v[16:17], v[38:39], v[18:19], -v[54:55]
	v_fma_f64 v[18:19], v[40:41], v[18:19], v[20:21]
	;; [unrolled: 2-line block ×5, first 2 shown]
	ds_write_b128 v136, v[12:15] offset:6000
	ds_write_b128 v136, v[16:19] offset:12400
	;; [unrolled: 1-line block ×5, first 2 shown]
.LBB0_17:
	s_or_b32 exec_lo, exec_lo, s1
	s_waitcnt lgkmcnt(0)
	s_waitcnt_vscnt null, 0x0
	s_barrier
	buffer_gl0_inv
	ds_read_b128 v[48:51], v136
	ds_read_b128 v[44:47], v136 offset:2000
	ds_read_b128 v[124:127], v136 offset:12800
	;; [unrolled: 1-line block ×14, first 2 shown]
	s_and_saveexec_b32 s0, vcc_lo
	s_cbranch_execz .LBB0_19
; %bb.18:
	ds_read_b128 v[8:11], v136 offset:6000
	ds_read_b128 v[252:255], v136 offset:12400
	;; [unrolled: 1-line block ×5, first 2 shown]
.LBB0_19:
	s_or_b32 exec_lo, exec_lo, s0
	s_waitcnt lgkmcnt(8)
	v_add_f64 v[60:61], v[48:49], v[132:133]
	v_add_f64 v[62:63], v[50:51], v[134:135]
	s_waitcnt lgkmcnt(4)
	v_add_f64 v[64:65], v[124:125], v[128:129]
	v_add_f64 v[70:71], v[132:133], v[56:57]
	;; [unrolled: 1-line block ×4, first 2 shown]
	v_add_f64 v[66:67], v[134:135], -v[58:59]
	v_add_f64 v[68:69], v[126:127], -v[130:131]
	;; [unrolled: 1-line block ×6, first 2 shown]
	s_waitcnt lgkmcnt(2)
	v_add_f64 v[84:85], v[40:41], v[36:37]
	v_add_f64 v[86:87], v[132:133], -v[56:57]
	v_add_f64 v[88:89], v[124:125], -v[128:129]
	;; [unrolled: 1-line block ×4, first 2 shown]
	v_add_f64 v[94:95], v[52:53], v[32:33]
	v_add_f64 v[132:133], v[46:47], v[54:55]
	v_add_f64 v[134:135], v[54:55], -v[34:35]
	v_add_f64 v[96:97], v[52:53], -v[40:41]
	;; [unrolled: 1-line block ×3, first 2 shown]
	v_add_f64 v[60:61], v[60:61], v[124:125]
	v_add_f64 v[62:63], v[62:63], v[126:127]
	;; [unrolled: 1-line block ×3, first 2 shown]
	v_add_f64 v[126:127], v[58:59], -v[130:131]
	s_mov_b32 s0, 0x134454ff
	s_mov_b32 s1, 0xbfee6f0e
	;; [unrolled: 1-line block ×5, first 2 shown]
	v_add_f64 v[72:73], v[72:73], v[74:75]
	s_mov_b32 s5, 0xbfe2cf23
	s_mov_b32 s13, 0x3fe2cf23
	s_mov_b32 s12, s4
	v_add_f64 v[80:81], v[80:81], v[82:83]
	s_mov_b32 s14, 0x372fe950
	s_mov_b32 s15, 0x3fd3c6ef
	s_waitcnt lgkmcnt(0)
	v_add_f64 v[100:101], v[250:251], -v[2:3]
	s_barrier
	buffer_gl0_inv
	v_add_f64 v[60:61], v[60:61], v[128:129]
	v_add_f64 v[62:63], v[62:63], v[130:131]
	v_add_f64 v[128:129], v[130:131], -v[58:59]
	v_add_f64 v[130:131], v[44:45], v[52:53]
	v_add_f64 v[90:91], v[90:91], v[126:127]
	;; [unrolled: 1-line block ×4, first 2 shown]
	v_add_f64 v[60:61], v[40:41], -v[52:53]
	v_add_f64 v[52:53], v[54:55], -v[42:43]
	v_fma_f64 v[62:63], v[64:65], -0.5, v[48:49]
	v_add_f64 v[64:65], v[42:43], -v[54:55]
	v_add_f64 v[54:55], v[42:43], v[38:39]
	v_fma_f64 v[48:49], v[70:71], -0.5, v[48:49]
	v_fma_f64 v[70:71], v[76:77], -0.5, v[50:51]
	;; [unrolled: 1-line block ×3, first 2 shown]
	v_add_f64 v[76:77], v[42:43], -v[38:39]
	v_fma_f64 v[78:79], v[84:85], -0.5, v[44:45]
	v_fma_f64 v[44:45], v[94:95], -0.5, v[44:45]
	;; [unrolled: 1-line block ×3, first 2 shown]
	v_add_f64 v[42:43], v[132:133], v[42:43]
	v_add_f64 v[124:125], v[40:41], -v[36:37]
	v_add_f64 v[40:41], v[130:131], v[40:41]
	v_add_f64 v[130:131], v[32:33], -v[36:37]
	;; [unrolled: 2-line block ×3, first 2 shown]
	v_fma_f64 v[84:85], v[66:67], s[0:1], v[62:63]
	v_fma_f64 v[62:63], v[66:67], s[2:3], v[62:63]
	v_fma_f64 v[54:55], v[54:55], -0.5, v[46:47]
	v_fma_f64 v[46:47], v[68:69], s[2:3], v[48:49]
	v_fma_f64 v[48:49], v[68:69], s[0:1], v[48:49]
	;; [unrolled: 1-line block ×10, first 2 shown]
	v_add_f64 v[96:97], v[96:97], v[130:131]
	v_fma_f64 v[84:85], v[68:69], s[4:5], v[84:85]
	v_fma_f64 v[62:63], v[68:69], s[12:13], v[62:63]
	v_add_f64 v[68:69], v[36:37], -v[32:33]
	v_fma_f64 v[46:47], v[66:67], s[4:5], v[46:47]
	v_fma_f64 v[66:67], v[66:67], s[12:13], v[48:49]
	;; [unrolled: 1-line block ×6, first 2 shown]
	v_add_f64 v[88:89], v[20:21], v[16:17]
	v_fma_f64 v[74:75], v[86:87], s[12:13], v[74:75]
	v_fma_f64 v[86:87], v[86:87], s[4:5], v[50:51]
	;; [unrolled: 1-line block ×4, first 2 shown]
	v_add_f64 v[78:79], v[24:25], v[12:13]
	v_add_f64 v[36:37], v[40:41], v[36:37]
	v_fma_f64 v[126:127], v[134:135], s[4:5], v[126:127]
	v_fma_f64 v[130:131], v[134:135], s[12:13], v[44:45]
	v_add_f64 v[134:135], v[26:27], v[14:15]
	v_fma_f64 v[40:41], v[72:73], s[14:15], v[84:85]
	v_add_f64 v[84:85], v[42:43], v[38:39]
	;; [unrolled: 2-line block ×3, first 2 shown]
	v_add_f64 v[68:69], v[60:61], v[68:69]
	v_fma_f64 v[62:63], v[124:125], s[12:13], v[48:49]
	v_fma_f64 v[48:49], v[80:81], s[14:15], v[46:47]
	;; [unrolled: 1-line block ×4, first 2 shown]
	v_fma_f64 v[88:89], v[88:89], -0.5, v[28:29]
	v_fma_f64 v[46:47], v[90:91], s[14:15], v[70:71]
	v_add_f64 v[70:71], v[26:27], -v[14:15]
	v_add_f64 v[90:91], v[22:23], v[18:19]
	v_fma_f64 v[50:51], v[92:93], s[14:15], v[74:75]
	v_add_f64 v[74:75], v[38:39], -v[34:35]
	v_add_f64 v[132:133], v[28:29], v[24:25]
	v_fma_f64 v[52:53], v[80:81], s[14:15], v[66:67]
	v_fma_f64 v[66:67], v[124:125], s[0:1], v[94:95]
	v_fma_f64 v[54:55], v[92:93], s[14:15], v[86:87]
	v_add_f64 v[32:33], v[36:37], v[32:33]
	v_fma_f64 v[80:81], v[124:125], s[2:3], v[94:95]
	v_fma_f64 v[36:37], v[96:97], s[14:15], v[82:83]
	;; [unrolled: 1-line block ×3, first 2 shown]
	v_add_f64 v[34:35], v[84:85], v[34:35]
	v_add_f64 v[76:77], v[30:31], v[26:27]
	;; [unrolled: 1-line block ×4, first 2 shown]
	v_fma_f64 v[38:39], v[72:73], s[14:15], v[62:63]
	v_add_f64 v[86:87], v[254:255], v[250:251]
	v_fma_f64 v[62:63], v[72:73], s[14:15], v[128:129]
	v_add_f64 v[72:73], v[6:7], v[2:3]
	v_add_f64 v[92:93], v[22:23], -v[18:19]
	v_fma_f64 v[28:29], v[78:79], -0.5, v[28:29]
	v_fma_f64 v[78:79], v[70:71], s[0:1], v[88:89]
	v_fma_f64 v[90:91], v[90:91], -0.5, v[30:31]
	v_fma_f64 v[30:31], v[134:135], -0.5, v[30:31]
	v_add_f64 v[94:95], v[24:25], -v[20:21]
	v_add_f64 v[96:97], v[20:21], -v[24:25]
	;; [unrolled: 1-line block ×3, first 2 shown]
	v_add_f64 v[64:65], v[64:65], v[74:75]
	v_add_f64 v[74:75], v[16:17], -v[12:13]
	v_fma_f64 v[88:89], v[70:71], s[2:3], v[88:89]
	v_add_f64 v[128:129], v[8:9], v[252:253]
	v_add_f64 v[134:135], v[10:11], v[254:255]
	v_fma_f64 v[66:67], v[98:99], s[12:13], v[66:67]
	v_add_f64 v[24:25], v[24:25], -v[12:13]
	v_fma_f64 v[80:81], v[98:99], s[4:5], v[80:81]
	v_add_f64 v[98:99], v[26:27], -v[22:23]
	v_add_f64 v[26:27], v[22:23], -v[26:27]
	v_add_f64 v[132:133], v[132:133], v[20:21]
	v_add_f64 v[22:23], v[76:77], v[22:23]
	v_add_f64 v[20:21], v[20:21], -v[16:17]
	v_fma_f64 v[76:77], v[82:83], -0.5, v[8:9]
	v_fma_f64 v[8:9], v[84:85], -0.5, v[8:9]
	;; [unrolled: 1-line block ×4, first 2 shown]
	v_fma_f64 v[84:85], v[92:93], s[2:3], v[28:29]
	v_fma_f64 v[78:79], v[92:93], s[4:5], v[78:79]
	v_add_f64 v[86:87], v[254:255], -v[250:251]
	v_fma_f64 v[28:29], v[92:93], s[0:1], v[28:29]
	v_add_f64 v[82:83], v[94:95], v[124:125]
	v_add_f64 v[124:125], v[252:253], -v[4:5]
	v_add_f64 v[74:75], v[96:97], v[74:75]
	v_fma_f64 v[88:89], v[92:93], s[12:13], v[88:89]
	v_add_f64 v[92:93], v[252:253], -v[248:249]
	v_add_f64 v[94:95], v[128:129], v[4:5]
	v_add_f64 v[96:97], v[134:135], v[6:7]
	v_add_f64 v[128:129], v[4:5], -v[252:253]
	v_add_f64 v[134:135], v[254:255], -v[6:7]
	;; [unrolled: 1-line block ×4, first 2 shown]
	v_add_f64 v[16:17], v[132:133], v[16:17]
	v_add_f64 v[132:133], v[248:249], -v[0:1]
	v_fma_f64 v[102:103], v[20:21], s[0:1], v[30:31]
	v_add_f64 v[6:7], v[6:7], -v[2:3]
	v_add_f64 v[4:5], v[4:5], -v[0:1]
	v_add_f64 v[22:23], v[22:23], v[18:19]
	v_add_f64 v[18:19], v[18:19], -v[14:15]
	v_fma_f64 v[84:85], v[70:71], s[4:5], v[84:85]
	v_fma_f64 v[30:31], v[20:21], s[2:3], v[30:31]
	;; [unrolled: 1-line block ×3, first 2 shown]
	v_add_f64 v[94:95], v[94:95], v[0:1]
	v_add_f64 v[96:97], v[96:97], v[2:3]
	v_add_f64 v[0:1], v[0:1], -v[248:249]
	v_add_f64 v[100:101], v[134:135], v[100:101]
	v_add_f64 v[2:3], v[2:3], -v[250:251]
	v_add_f64 v[70:71], v[98:99], v[254:255]
	v_fma_f64 v[98:99], v[24:25], s[2:3], v[90:91]
	v_fma_f64 v[90:91], v[24:25], s[0:1], v[90:91]
	v_add_f64 v[18:19], v[26:27], v[18:19]
	v_fma_f64 v[26:27], v[86:87], s[0:1], v[76:77]
	v_fma_f64 v[76:77], v[86:87], s[2:3], v[76:77]
	;; [unrolled: 1-line block ×3, first 2 shown]
	v_add_f64 v[254:255], v[128:129], v[0:1]
	v_fma_f64 v[128:129], v[74:75], s[14:15], v[28:29]
	v_add_f64 v[252:253], v[252:253], v[2:3]
	v_add_f64 v[0:1], v[94:95], v[248:249]
	v_fma_f64 v[98:99], v[20:21], s[12:13], v[98:99]
	v_fma_f64 v[20:21], v[20:21], s[4:5], v[90:91]
	;; [unrolled: 1-line block ×3, first 2 shown]
	v_add_f64 v[102:103], v[124:125], v[132:133]
	v_fma_f64 v[124:125], v[92:93], s[2:3], v[72:73]
	v_fma_f64 v[72:73], v[92:93], s[0:1], v[72:73]
	;; [unrolled: 1-line block ×8, first 2 shown]
	v_add_f64 v[26:27], v[22:23], v[14:15]
	v_add_f64 v[2:3], v[96:97], v[250:251]
	v_fma_f64 v[106:107], v[4:5], s[12:13], v[124:125]
	v_fma_f64 v[72:73], v[4:5], s[4:5], v[72:73]
	;; [unrolled: 1-line block ×12, first 2 shown]
	v_add_f64 v[24:25], v[16:17], v[12:13]
	v_fma_f64 v[66:67], v[70:71], s[14:15], v[98:99]
	v_fma_f64 v[70:71], v[70:71], s[14:15], v[20:21]
	;; [unrolled: 1-line block ×9, first 2 shown]
	buffer_load_dword v72, off, s[20:23], 0 offset:308 ; 4-byte Folded Reload
	v_fma_f64 v[12:13], v[254:255], s[14:15], v[104:105]
	v_fma_f64 v[20:21], v[254:255], s[14:15], v[86:87]
	s_waitcnt vmcnt(0)
	ds_write_b128 v72, v[56:59]
	ds_write_b128 v72, v[40:43] offset:16
	ds_write_b128 v72, v[48:51] offset:32
	ds_write_b128 v72, v[52:55] offset:48
	ds_write_b128 v72, v[44:47] offset:64
	buffer_load_dword v40, off, s[20:23], 0 offset:312 ; 4-byte Folded Reload
	v_fma_f64 v[14:15], v[252:253], s[14:15], v[134:135]
	v_fma_f64 v[22:23], v[252:253], s[14:15], v[92:93]
	s_waitcnt vmcnt(0)
	ds_write_b128 v40, v[32:35]
	ds_write_b128 v40, v[36:39] offset:16
	ds_write_b128 v40, v[4:7] offset:32
	;; [unrolled: 1-line block ×4, first 2 shown]
	buffer_load_dword v4, off, s[20:23], 0 offset:316 ; 4-byte Folded Reload
	s_waitcnt vmcnt(0)
	ds_write_b128 v4, v[24:27]
	ds_write_b128 v4, v[64:67] offset:16
	ds_write_b128 v4, v[124:127] offset:32
	;; [unrolled: 1-line block ×4, first 2 shown]
	s_and_saveexec_b32 s0, vcc_lo
	s_cbranch_execz .LBB0_21
; %bb.20:
	buffer_load_dword v4, off, s[20:23], 0 offset:508 ; 4-byte Folded Reload
	s_waitcnt vmcnt(0)
	v_lshlrev_b32_e32 v4, 4, v4
	ds_write_b128 v4, v[0:3]
	ds_write_b128 v4, v[28:31] offset:16
	ds_write_b128 v4, v[12:15] offset:32
	;; [unrolled: 1-line block ×4, first 2 shown]
.LBB0_21:
	s_or_b32 exec_lo, exec_lo, s0
	s_waitcnt lgkmcnt(0)
	s_barrier
	buffer_gl0_inv
	ds_read_b128 v[24:27], v136
	ds_read_b128 v[8:11], v136 offset:2000
	ds_read_b128 v[128:131], v136 offset:12800
	;; [unrolled: 1-line block ×14, first 2 shown]
	s_and_saveexec_b32 s0, vcc_lo
	s_cbranch_execz .LBB0_23
; %bb.22:
	ds_read_b128 v[0:3], v136 offset:6000
	ds_read_b128 v[28:31], v136 offset:12400
	;; [unrolled: 1-line block ×5, first 2 shown]
.LBB0_23:
	s_or_b32 exec_lo, exec_lo, s0
	s_clause 0x13
	buffer_load_dword v64, off, s[20:23], 0 offset:292
	buffer_load_dword v65, off, s[20:23], 0 offset:296
	;; [unrolled: 1-line block ×20, first 2 shown]
	s_mov_b32 s0, 0x134454ff
	s_mov_b32 s1, 0xbfee6f0e
	;; [unrolled: 1-line block ×8, first 2 shown]
	s_waitcnt vmcnt(16) lgkmcnt(8)
	v_mul_f64 v[60:61], v[66:67], v[254:255]
	v_mul_f64 v[62:63], v[66:67], v[252:253]
	s_waitcnt vmcnt(12)
	v_mul_f64 v[66:67], v[70:71], v[248:249]
	v_fma_f64 v[60:61], v[64:65], v[252:253], v[60:61]
	v_fma_f64 v[62:63], v[64:65], v[254:255], -v[62:63]
	v_mul_f64 v[64:65], v[70:71], v[250:251]
	v_fma_f64 v[66:67], v[68:69], v[250:251], -v[66:67]
	s_waitcnt vmcnt(8)
	v_mul_f64 v[70:71], v[74:75], v[128:129]
	v_fma_f64 v[64:65], v[68:69], v[248:249], v[64:65]
	v_mul_f64 v[68:69], v[74:75], v[130:131]
	v_fma_f64 v[70:71], v[72:73], v[130:131], -v[70:71]
	s_waitcnt vmcnt(4) lgkmcnt(4)
	v_mul_f64 v[74:75], v[78:79], v[132:133]
	v_fma_f64 v[68:69], v[72:73], v[128:129], v[68:69]
	v_mul_f64 v[72:73], v[78:79], v[134:135]
	v_fma_f64 v[74:75], v[76:77], v[134:135], -v[74:75]
	s_waitcnt vmcnt(0)
	v_mul_f64 v[78:79], v[82:83], v[124:125]
	v_fma_f64 v[72:73], v[76:77], v[132:133], v[72:73]
	v_mul_f64 v[76:77], v[82:83], v[126:127]
	s_clause 0x3
	buffer_load_dword v82, off, s[20:23], 0 offset:352
	buffer_load_dword v83, off, s[20:23], 0 offset:356
	;; [unrolled: 1-line block ×4, first 2 shown]
	v_fma_f64 v[78:79], v[80:81], v[126:127], -v[78:79]
	v_add_f64 v[94:95], v[68:69], v[72:73]
	v_fma_f64 v[76:77], v[80:81], v[124:125], v[76:77]
	s_waitcnt vmcnt(0)
	v_mul_f64 v[80:81], v[84:85], v[54:55]
	v_fma_f64 v[80:81], v[82:83], v[52:53], v[80:81]
	v_mul_f64 v[52:53], v[84:85], v[52:53]
	s_clause 0x3
	buffer_load_dword v84, off, s[20:23], 0 offset:368
	buffer_load_dword v85, off, s[20:23], 0 offset:372
	;; [unrolled: 1-line block ×4, first 2 shown]
	v_fma_f64 v[82:83], v[82:83], v[54:55], -v[52:53]
	s_waitcnt vmcnt(0) lgkmcnt(2)
	v_mul_f64 v[52:53], v[86:87], v[58:59]
	v_fma_f64 v[54:55], v[84:85], v[56:57], v[52:53]
	v_mul_f64 v[52:53], v[86:87], v[56:57]
	s_clause 0x7
	buffer_load_dword v86, off, s[20:23], 0 offset:384
	buffer_load_dword v87, off, s[20:23], 0 offset:388
	;; [unrolled: 1-line block ×8, first 2 shown]
	v_fma_f64 v[58:59], v[84:85], v[58:59], -v[52:53]
	s_waitcnt vmcnt(4)
	v_mul_f64 v[52:53], v[88:89], v[50:51]
	v_mul_f64 v[56:57], v[88:89], v[48:49]
	s_waitcnt lgkmcnt(1)
	v_mul_f64 v[88:89], v[110:111], v[36:37]
	s_waitcnt vmcnt(0) lgkmcnt(0)
	v_mul_f64 v[90:91], v[104:105], v[34:35]
	v_mul_f64 v[92:93], v[104:105], v[32:33]
	v_add_f64 v[104:105], v[60:61], v[64:65]
	v_fma_f64 v[84:85], v[86:87], v[48:49], v[52:53]
	v_fma_f64 v[50:51], v[86:87], v[50:51], -v[56:57]
	v_mul_f64 v[48:49], v[118:119], v[46:47]
	v_mul_f64 v[52:53], v[118:119], v[44:45]
	;; [unrolled: 1-line block ×4, first 2 shown]
	v_fma_f64 v[48:49], v[116:117], v[44:45], v[48:49]
	v_fma_f64 v[44:45], v[116:117], v[46:47], -v[52:53]
	v_fma_f64 v[46:47], v[112:113], v[40:41], v[56:57]
	v_fma_f64 v[40:41], v[112:113], v[42:43], -v[86:87]
	s_clause 0x3
	buffer_load_dword v112, off, s[20:23], 0 offset:448
	buffer_load_dword v113, off, s[20:23], 0 offset:452
	;; [unrolled: 1-line block ×4, first 2 shown]
	v_mul_f64 v[52:53], v[110:111], v[38:39]
	v_fma_f64 v[38:39], v[108:109], v[38:39], -v[88:89]
	v_mul_f64 v[56:57], v[122:123], v[30:31]
	v_mul_f64 v[86:87], v[122:123], v[28:29]
	v_add_f64 v[88:89], v[26:27], v[62:63]
	v_fma_f64 v[42:43], v[108:109], v[36:37], v[52:53]
	v_add_f64 v[52:53], v[24:25], v[60:61]
	v_fma_f64 v[36:37], v[102:103], v[32:33], v[90:91]
	v_fma_f64 v[32:33], v[102:103], v[34:35], -v[92:93]
	v_fma_f64 v[28:29], v[120:121], v[28:29], v[56:57]
	v_fma_f64 v[30:31], v[120:121], v[30:31], -v[86:87]
	v_add_f64 v[56:57], v[62:63], -v[66:67]
	v_fma_f64 v[86:87], v[94:95], -0.5, v[24:25]
	v_add_f64 v[94:95], v[70:71], v[74:75]
	v_add_f64 v[88:89], v[88:89], v[70:71]
	v_fma_f64 v[24:25], v[104:105], -0.5, v[24:25]
	v_add_f64 v[106:107], v[52:53], v[68:69]
	v_add_f64 v[122:123], v[48:49], v[36:37]
	v_fma_f64 v[104:105], v[56:57], s[0:1], v[86:87]
	v_fma_f64 v[86:87], v[56:57], s[12:13], v[86:87]
	v_fma_f64 v[94:95], v[94:95], -0.5, v[26:27]
	v_add_f64 v[88:89], v[88:89], v[74:75]
	s_waitcnt vmcnt(0)
	v_mul_f64 v[96:97], v[114:115], v[14:15]
	v_mul_f64 v[98:99], v[114:115], v[12:13]
	s_clause 0x7
	buffer_load_dword v114, off, s[20:23], 0 offset:464
	buffer_load_dword v115, off, s[20:23], 0 offset:468
	;; [unrolled: 1-line block ×8, first 2 shown]
	s_waitcnt vmcnt(0)
	s_barrier
	buffer_gl0_inv
	v_fma_f64 v[52:53], v[112:113], v[12:13], v[96:97]
	v_fma_f64 v[96:97], v[112:113], v[14:15], -v[98:99]
	v_add_f64 v[98:99], v[62:63], v[66:67]
	v_add_f64 v[112:113], v[8:9], v[76:77]
	v_fma_f64 v[26:27], v[98:99], -0.5, v[26:27]
	v_add_f64 v[98:99], v[66:67], -v[74:75]
	v_mul_f64 v[100:101], v[116:117], v[22:23]
	v_mul_f64 v[90:91], v[116:117], v[20:21]
	;; [unrolled: 1-line block ×4, first 2 shown]
	v_add_f64 v[110:111], v[62:63], -v[70:71]
	v_add_f64 v[62:63], v[70:71], -v[62:63]
	;; [unrolled: 1-line block ×3, first 2 shown]
	v_fma_f64 v[34:35], v[114:115], v[20:21], v[100:101]
	v_fma_f64 v[20:21], v[114:115], v[22:23], -v[90:91]
	v_fma_f64 v[12:13], v[108:109], v[16:17], v[92:93]
	v_add_f64 v[16:17], v[70:71], -v[74:75]
	v_add_f64 v[22:23], v[60:61], -v[68:69]
	;; [unrolled: 1-line block ×3, first 2 shown]
	v_add_f64 v[92:93], v[80:81], v[54:55]
	v_add_f64 v[100:101], v[60:61], -v[64:65]
	v_fma_f64 v[14:15], v[108:109], v[18:19], -v[102:103]
	v_add_f64 v[18:19], v[106:107], v[72:73]
	v_add_f64 v[102:103], v[76:77], v[84:85]
	v_add_f64 v[60:61], v[68:69], -v[60:61]
	v_add_f64 v[106:107], v[72:73], -v[64:65]
	;; [unrolled: 1-line block ×3, first 2 shown]
	v_add_f64 v[72:73], v[82:83], v[58:59]
	v_add_f64 v[108:109], v[78:79], v[50:51]
	v_add_f64 v[114:115], v[78:79], -v[50:51]
	v_fma_f64 v[70:71], v[16:17], s[12:13], v[24:25]
	v_fma_f64 v[86:87], v[16:17], s[4:5], v[86:87]
	v_add_f64 v[90:91], v[22:23], v[90:91]
	v_fma_f64 v[22:23], v[16:17], s[0:1], v[24:25]
	v_fma_f64 v[24:25], v[92:93], -0.5, v[8:9]
	v_fma_f64 v[92:93], v[16:17], s[2:3], v[104:105]
	v_fma_f64 v[104:105], v[100:101], s[12:13], v[94:95]
	;; [unrolled: 1-line block ×3, first 2 shown]
	v_add_f64 v[16:17], v[18:19], v[64:65]
	v_add_f64 v[18:19], v[88:89], v[66:67]
	v_add_f64 v[64:65], v[82:83], -v[58:59]
	v_fma_f64 v[8:9], v[102:103], -0.5, v[8:9]
	v_add_f64 v[66:67], v[74:75], -v[66:67]
	v_add_f64 v[74:75], v[76:77], -v[80:81]
	v_add_f64 v[88:89], v[10:11], v[78:79]
	v_fma_f64 v[72:73], v[72:73], -0.5, v[10:11]
	v_fma_f64 v[10:11], v[108:109], -0.5, v[10:11]
	v_fma_f64 v[102:103], v[68:69], s[0:1], v[26:27]
	v_add_f64 v[108:109], v[84:85], -v[54:55]
	v_fma_f64 v[26:27], v[68:69], s[12:13], v[26:27]
	v_add_f64 v[60:61], v[60:61], v[106:107]
	v_add_f64 v[106:107], v[112:113], v[80:81]
	v_fma_f64 v[70:71], v[56:57], s[2:3], v[70:71]
	v_add_f64 v[76:77], v[80:81], -v[76:77]
	v_add_f64 v[80:81], v[80:81], -v[54:55]
	v_fma_f64 v[112:113], v[56:57], s[4:5], v[22:23]
	v_fma_f64 v[22:23], v[114:115], s[0:1], v[24:25]
	;; [unrolled: 1-line block ×3, first 2 shown]
	v_add_f64 v[56:57], v[110:111], v[98:99]
	v_add_f64 v[98:99], v[54:55], -v[84:85]
	v_fma_f64 v[104:105], v[68:69], s[4:5], v[104:105]
	v_fma_f64 v[68:69], v[68:69], s[2:3], v[94:95]
	v_add_f64 v[94:95], v[78:79], -v[82:83]
	v_add_f64 v[110:111], v[50:51], -v[58:59]
	v_add_f64 v[62:63], v[62:63], v[66:67]
	v_add_f64 v[66:67], v[46:47], v[42:43]
	;; [unrolled: 1-line block ×3, first 2 shown]
	v_fma_f64 v[118:119], v[116:117], s[12:13], v[72:73]
	v_fma_f64 v[120:121], v[64:65], s[12:13], v[8:9]
	;; [unrolled: 1-line block ×6, first 2 shown]
	v_add_f64 v[106:107], v[106:107], v[54:55]
	v_add_f64 v[108:109], v[74:75], v[108:109]
	v_fma_f64 v[54:55], v[90:91], s[14:15], v[86:87]
	v_add_f64 v[86:87], v[4:5], v[48:49]
	v_fma_f64 v[72:73], v[60:61], s[14:15], v[112:113]
	v_fma_f64 v[124:125], v[64:65], s[2:3], v[22:23]
	;; [unrolled: 1-line block ×4, first 2 shown]
	v_add_f64 v[98:99], v[76:77], v[98:99]
	v_fma_f64 v[24:25], v[56:57], s[14:15], v[104:105]
	v_fma_f64 v[56:57], v[56:57], s[14:15], v[68:69]
	v_add_f64 v[90:91], v[44:45], -v[32:33]
	v_add_f64 v[92:93], v[94:95], v[110:111]
	v_fma_f64 v[68:69], v[60:61], s[14:15], v[70:71]
	v_fma_f64 v[66:67], v[66:67], -0.5, v[4:5]
	v_add_f64 v[88:89], v[88:89], v[58:59]
	v_fma_f64 v[60:61], v[80:81], s[4:5], v[118:119]
	v_fma_f64 v[4:5], v[122:123], -0.5, v[4:5]
	v_fma_f64 v[70:71], v[62:63], s[14:15], v[102:103]
	v_add_f64 v[102:103], v[40:41], v[38:39]
	v_fma_f64 v[74:75], v[62:63], s[14:15], v[26:27]
	v_fma_f64 v[94:95], v[80:81], s[2:3], v[100:101]
	v_add_f64 v[100:101], v[40:41], -v[38:39]
	v_add_f64 v[26:27], v[44:45], v[32:33]
	v_add_f64 v[62:63], v[82:83], -v[78:79]
	v_fma_f64 v[104:105], v[80:81], s[0:1], v[10:11]
	v_fma_f64 v[110:111], v[114:115], s[2:3], v[120:121]
	v_add_f64 v[58:59], v[58:59], -v[50:51]
	v_fma_f64 v[8:9], v[114:115], s[4:5], v[8:9]
	v_fma_f64 v[10:11], v[80:81], s[12:13], v[10:11]
	v_add_f64 v[76:77], v[106:107], v[84:85]
	v_add_f64 v[106:107], v[86:87], v[46:47]
	v_fma_f64 v[80:81], v[108:109], s[14:15], v[124:125]
	v_fma_f64 v[84:85], v[108:109], s[14:15], v[64:65]
	v_add_f64 v[108:109], v[48:49], -v[46:47]
	v_add_f64 v[112:113], v[6:7], v[44:45]
	v_add_f64 v[114:115], v[36:37], -v[42:43]
	v_fma_f64 v[64:65], v[90:91], s[0:1], v[66:67]
	v_add_f64 v[78:79], v[88:89], v[50:51]
	v_fma_f64 v[82:83], v[92:93], s[14:15], v[60:61]
	v_add_f64 v[50:51], v[52:53], v[34:35]
	v_fma_f64 v[60:61], v[102:103], -0.5, v[6:7]
	v_add_f64 v[88:89], v[28:29], v[12:13]
	v_fma_f64 v[86:87], v[92:93], s[14:15], v[94:95]
	v_add_f64 v[92:93], v[96:97], v[20:21]
	v_add_f64 v[94:95], v[30:31], v[14:15]
	v_add_f64 v[102:103], v[48:49], -v[36:37]
	v_fma_f64 v[66:67], v[90:91], s[12:13], v[66:67]
	v_fma_f64 v[6:7], v[26:27], -0.5, v[6:7]
	v_fma_f64 v[26:27], v[100:101], s[12:13], v[4:5]
	v_add_f64 v[58:59], v[62:63], v[58:59]
	v_add_f64 v[48:49], v[46:47], -v[48:49]
	v_add_f64 v[46:47], v[46:47], -v[42:43]
	v_add_f64 v[62:63], v[106:107], v[42:43]
	v_add_f64 v[42:43], v[42:43], -v[36:37]
	v_fma_f64 v[4:5], v[100:101], s[0:1], v[4:5]
	v_fma_f64 v[104:105], v[116:117], s[4:5], v[104:105]
	v_add_f64 v[106:107], v[112:113], v[40:41]
	v_add_f64 v[108:109], v[108:109], v[114:115]
	;; [unrolled: 1-line block ×4, first 2 shown]
	v_fma_f64 v[10:11], v[116:117], s[2:3], v[10:11]
	v_add_f64 v[116:117], v[44:45], -v[40:41]
	v_add_f64 v[118:119], v[32:33], -v[38:39]
	v_fma_f64 v[50:51], v[50:51], -0.5, v[0:1]
	v_fma_f64 v[0:1], v[88:89], -0.5, v[0:1]
	;; [unrolled: 1-line block ×4, first 2 shown]
	v_add_f64 v[40:41], v[40:41], -v[44:45]
	v_add_f64 v[44:45], v[30:31], -v[14:15]
	;; [unrolled: 1-line block ×3, first 2 shown]
	v_fma_f64 v[64:65], v[100:101], s[2:3], v[64:65]
	v_fma_f64 v[66:67], v[100:101], s[4:5], v[66:67]
	;; [unrolled: 1-line block ×5, first 2 shown]
	v_add_f64 v[48:49], v[48:49], v[42:43]
	v_fma_f64 v[4:5], v[90:91], s[4:5], v[4:5]
	v_add_f64 v[42:43], v[30:31], -v[96:97]
	v_add_f64 v[90:91], v[106:107], v[38:39]
	v_add_f64 v[30:31], v[96:97], -v[30:31]
	v_add_f64 v[112:113], v[112:113], v[52:53]
	v_add_f64 v[38:39], v[114:115], v[96:97]
	v_add_f64 v[96:97], v[96:97], -v[20:21]
	v_fma_f64 v[60:61], v[102:103], s[0:1], v[60:61]
	v_fma_f64 v[6:7], v[46:47], s[12:13], v[6:7]
	v_add_f64 v[106:107], v[116:117], v[118:119]
	v_add_f64 v[116:117], v[12:13], -v[34:35]
	v_add_f64 v[118:119], v[34:35], -v[12:13]
	;; [unrolled: 1-line block ×3, first 2 shown]
	v_add_f64 v[94:95], v[40:41], v[94:95]
	v_fma_f64 v[40:41], v[44:45], s[12:13], v[50:51]
	v_fma_f64 v[120:121], v[102:103], s[4:5], v[26:27]
	v_fma_f64 v[92:93], v[46:47], s[4:5], v[92:93]
	v_add_f64 v[32:33], v[90:91], v[32:33]
	v_add_f64 v[112:113], v[112:113], v[34:35]
	v_fma_f64 v[26:27], v[96:97], s[12:13], v[0:1]
	v_fma_f64 v[0:1], v[96:97], s[0:1], v[0:1]
	;; [unrolled: 1-line block ×4, first 2 shown]
	v_add_f64 v[50:51], v[28:29], -v[12:13]
	v_add_f64 v[28:29], v[52:53], -v[28:29]
	;; [unrolled: 1-line block ×3, first 2 shown]
	v_fma_f64 v[6:7], v[102:103], s[2:3], v[6:7]
	v_add_f64 v[102:103], v[114:115], v[116:117]
	v_add_f64 v[34:35], v[20:21], -v[14:15]
	v_fma_f64 v[122:123], v[44:45], s[4:5], v[0:1]
	v_add_f64 v[0:1], v[112:113], v[12:13]
	buffer_load_dword v12, off, s[20:23], 0 offset:484 ; 4-byte Folded Reload
	v_fma_f64 v[114:115], v[96:97], s[2:3], v[46:47]
	v_add_f64 v[116:117], v[28:29], v[118:119]
	v_fma_f64 v[28:29], v[52:53], s[0:1], v[2:3]
	v_fma_f64 v[96:97], v[96:97], s[4:5], v[40:41]
	;; [unrolled: 1-line block ×3, first 2 shown]
	v_add_f64 v[46:47], v[14:15], -v[20:21]
	v_fma_f64 v[118:119], v[44:45], s[2:3], v[26:27]
	v_add_f64 v[20:21], v[38:39], v[20:21]
	v_fma_f64 v[26:27], v[98:99], s[14:15], v[110:111]
	v_fma_f64 v[38:39], v[98:99], s[14:15], v[8:9]
	;; [unrolled: 1-line block ×4, first 2 shown]
	v_add_f64 v[110:111], v[30:31], v[34:35]
	v_add_f64 v[30:31], v[62:63], v[36:37]
	v_fma_f64 v[34:35], v[108:109], s[14:15], v[64:65]
	v_fma_f64 v[44:45], v[106:107], s[14:15], v[60:61]
	;; [unrolled: 1-line block ×3, first 2 shown]
	s_waitcnt vmcnt(0)
	ds_write_b128 v12, v[16:19]
	ds_write_b128 v12, v[22:25] offset:80
	ds_write_b128 v12, v[68:71] offset:160
	;; [unrolled: 1-line block ×4, first 2 shown]
	buffer_load_dword v12, off, s[20:23], 0 offset:488 ; 4-byte Folded Reload
	v_fma_f64 v[98:99], v[50:51], s[4:5], v[28:29]
	v_fma_f64 v[28:29], v[58:59], s[14:15], v[104:105]
	;; [unrolled: 1-line block ×4, first 2 shown]
	v_add_f64 v[124:125], v[42:43], v[46:47]
	v_fma_f64 v[88:89], v[52:53], s[2:3], v[88:89]
	v_fma_f64 v[128:129], v[50:51], s[2:3], v[2:3]
	;; [unrolled: 1-line block ×9, first 2 shown]
	v_add_f64 v[2:3], v[20:21], v[14:15]
	v_fma_f64 v[46:47], v[48:49], s[14:15], v[100:101]
	v_fma_f64 v[48:49], v[94:95], s[14:15], v[120:121]
	s_waitcnt vmcnt(0)
	ds_write_b128 v12, v[76:79]
	ds_write_b128 v12, v[80:83] offset:80
	ds_write_b128 v12, v[26:29] offset:160
	;; [unrolled: 1-line block ×4, first 2 shown]
	buffer_load_dword v12, off, s[20:23], 0 offset:492 ; 4-byte Folded Reload
	v_fma_f64 v[6:7], v[124:125], s[14:15], v[126:127]
	v_fma_f64 v[66:67], v[124:125], s[14:15], v[88:89]
	;; [unrolled: 1-line block ×4, first 2 shown]
	s_waitcnt vmcnt(0)
	ds_write_b128 v12, v[30:33]
	ds_write_b128 v12, v[34:37] offset:80
	ds_write_b128 v12, v[46:49] offset:160
	;; [unrolled: 1-line block ×4, first 2 shown]
	s_and_saveexec_b32 s0, vcc_lo
	s_cbranch_execz .LBB0_25
; %bb.24:
	buffer_load_dword v13, off, s[20:23], 0 offset:496 ; 4-byte Folded Reload
	v_mov_b32_e32 v12, 4
	s_waitcnt vmcnt(0)
	v_lshlrev_b32_sdwa v12, v12, v13 dst_sel:DWORD dst_unused:UNUSED_PAD src0_sel:DWORD src1_sel:WORD_0
	ds_write_b128 v12, v[0:3]
	ds_write_b128 v12, v[4:7] offset:80
	ds_write_b128 v12, v[8:11] offset:160
	;; [unrolled: 1-line block ×4, first 2 shown]
.LBB0_25:
	s_or_b32 exec_lo, exec_lo, s0
	s_waitcnt lgkmcnt(0)
	s_barrier
	buffer_gl0_inv
	ds_read_b128 v[20:23], v136
	ds_read_b128 v[16:19], v136 offset:2000
	ds_read_b128 v[72:75], v136 offset:12800
	;; [unrolled: 1-line block ×14, first 2 shown]
	s_and_saveexec_b32 s0, vcc_lo
	s_cbranch_execz .LBB0_27
; %bb.26:
	ds_read_b128 v[0:3], v136 offset:6000
	ds_read_b128 v[4:7], v136 offset:12400
	;; [unrolled: 1-line block ×5, first 2 shown]
.LBB0_27:
	s_or_b32 exec_lo, exec_lo, s0
	s_waitcnt lgkmcnt(12)
	v_mul_f64 v[80:81], v[170:171], v[74:75]
	v_mul_f64 v[82:83], v[170:171], v[72:73]
	s_waitcnt lgkmcnt(4)
	v_mul_f64 v[84:85], v[166:167], v[78:79]
	v_mul_f64 v[86:87], v[166:167], v[76:77]
	;; [unrolled: 1-line block ×6, first 2 shown]
	s_waitcnt lgkmcnt(2)
	v_mul_f64 v[96:97], v[146:147], v[50:51]
	v_mul_f64 v[98:99], v[146:147], v[48:49]
	s_waitcnt lgkmcnt(1)
	v_mul_f64 v[104:105], v[178:179], v[30:31]
	v_mul_f64 v[106:107], v[178:179], v[28:29]
	;; [unrolled: 1-line block ×4, first 2 shown]
	s_mov_b32 s12, 0x134454ff
	s_mov_b32 s13, 0xbfee6f0e
	;; [unrolled: 1-line block ×7, first 2 shown]
	s_waitcnt lgkmcnt(0)
	v_fma_f64 v[72:73], v[168:169], v[72:73], v[80:81]
	v_fma_f64 v[74:75], v[168:169], v[74:75], -v[82:83]
	v_mul_f64 v[80:81], v[162:163], v[58:59]
	v_mul_f64 v[82:83], v[162:163], v[56:57]
	v_fma_f64 v[76:77], v[164:165], v[76:77], v[84:85]
	v_fma_f64 v[78:79], v[164:165], v[78:79], -v[86:87]
	v_mul_f64 v[84:85], v[142:143], v[38:39]
	v_mul_f64 v[86:87], v[142:143], v[36:37]
	;; [unrolled: 4-line block ×4, first 2 shown]
	v_fma_f64 v[48:49], v[144:145], v[48:49], v[96:97]
	v_fma_f64 v[50:51], v[144:145], v[50:51], -v[98:99]
	v_fma_f64 v[40:41], v[180:181], v[40:41], v[100:101]
	v_fma_f64 v[42:43], v[180:181], v[42:43], -v[102:103]
	s_barrier
	buffer_gl0_inv
	v_fma_f64 v[56:57], v[160:161], v[56:57], v[80:81]
	v_fma_f64 v[58:59], v[160:161], v[58:59], -v[82:83]
	v_mul_f64 v[80:81], v[186:187], v[46:47]
	v_mul_f64 v[82:83], v[186:187], v[44:45]
	v_add_f64 v[108:109], v[72:73], v[76:77]
	v_add_f64 v[110:111], v[74:75], v[78:79]
	v_fma_f64 v[36:37], v[140:141], v[36:37], v[84:85]
	v_fma_f64 v[38:39], v[140:141], v[38:39], -v[86:87]
	v_fma_f64 v[32:33], v[148:149], v[32:33], v[88:89]
	v_fma_f64 v[34:35], v[148:149], v[34:35], -v[90:91]
	v_add_f64 v[86:87], v[22:23], v[70:71]
	v_add_f64 v[128:129], v[18:19], v[54:55]
	v_fma_f64 v[92:93], v[172:173], v[24:25], v[92:93]
	v_fma_f64 v[94:95], v[172:173], v[26:27], -v[94:95]
	v_add_f64 v[24:25], v[74:75], -v[78:79]
	v_add_f64 v[26:27], v[68:69], -v[72:73]
	;; [unrolled: 1-line block ×4, first 2 shown]
	v_fma_f64 v[44:45], v[184:185], v[44:45], v[80:81]
	v_fma_f64 v[46:47], v[184:185], v[46:47], -v[82:83]
	v_fma_f64 v[80:81], v[176:177], v[28:29], v[104:105]
	v_fma_f64 v[82:83], v[176:177], v[30:31], -v[106:107]
	v_add_f64 v[28:29], v[68:69], v[56:57]
	v_add_f64 v[30:31], v[20:21], v[68:69]
	;; [unrolled: 1-line block ×3, first 2 shown]
	v_fma_f64 v[90:91], v[108:109], -0.5, v[20:21]
	v_fma_f64 v[98:99], v[110:111], -0.5, v[22:23]
	v_add_f64 v[100:101], v[56:57], -v[76:77]
	v_add_f64 v[102:103], v[36:37], v[48:49]
	v_add_f64 v[68:69], v[72:73], -v[68:69]
	v_add_f64 v[106:107], v[72:73], -v[76:77]
	;; [unrolled: 1-line block ×4, first 2 shown]
	v_add_f64 v[112:113], v[52:53], v[32:33]
	v_add_f64 v[70:71], v[74:75], -v[70:71]
	v_add_f64 v[104:105], v[76:77], -v[56:57]
	v_add_f64 v[114:115], v[78:79], -v[58:59]
	v_add_f64 v[116:117], v[38:39], -v[50:51]
	v_add_f64 v[122:123], v[36:37], -v[52:53]
	v_add_f64 v[124:125], v[38:39], v[50:51]
	v_add_f64 v[126:127], v[48:49], -v[32:33]
	v_add_f64 v[140:141], v[42:43], v[94:95]
	v_add_f64 v[118:119], v[52:53], -v[36:37]
	v_add_f64 v[134:135], v[46:47], v[82:83]
	v_fma_f64 v[20:21], v[28:29], -0.5, v[20:21]
	v_add_f64 v[30:31], v[30:31], v[72:73]
	v_add_f64 v[72:73], v[86:87], v[74:75]
	v_fma_f64 v[22:23], v[88:89], -0.5, v[22:23]
	v_fma_f64 v[74:75], v[84:85], s[12:13], v[90:91]
	v_fma_f64 v[86:87], v[84:85], s[14:15], v[90:91]
	;; [unrolled: 1-line block ×3, first 2 shown]
	v_add_f64 v[28:29], v[16:17], v[52:53]
	v_fma_f64 v[90:91], v[96:97], s[12:13], v[98:99]
	v_add_f64 v[98:99], v[54:55], -v[34:35]
	v_fma_f64 v[102:103], v[102:103], -0.5, v[16:17]
	v_fma_f64 v[16:17], v[112:113], -0.5, v[16:17]
	v_add_f64 v[26:27], v[26:27], v[100:101]
	v_add_f64 v[100:101], v[108:109], v[110:111]
	;; [unrolled: 1-line block ×5, first 2 shown]
	v_add_f64 v[120:121], v[32:33], -v[48:49]
	v_add_f64 v[70:71], v[70:71], v[114:115]
	v_fma_f64 v[114:115], v[124:125], -0.5, v[18:19]
	v_add_f64 v[130:131], v[54:55], v[34:35]
	v_add_f64 v[52:53], v[52:53], -v[32:33]
	v_fma_f64 v[108:109], v[24:25], s[14:15], v[20:21]
	v_fma_f64 v[20:21], v[24:25], s[12:13], v[20:21]
	v_add_f64 v[30:31], v[30:31], v[76:77]
	v_add_f64 v[72:73], v[72:73], v[78:79]
	v_fma_f64 v[76:77], v[106:107], s[12:13], v[22:23]
	v_fma_f64 v[74:75], v[24:25], s[2:3], v[74:75]
	;; [unrolled: 1-line block ×6, first 2 shown]
	v_add_f64 v[106:107], v[28:29], v[36:37]
	v_fma_f64 v[132:133], v[98:99], s[12:13], v[102:103]
	v_fma_f64 v[102:103], v[98:99], s[14:15], v[102:103]
	;; [unrolled: 1-line block ×4, first 2 shown]
	v_add_f64 v[36:37], v[36:37], -v[48:49]
	v_add_f64 v[142:143], v[82:83], -v[94:95]
	v_fma_f64 v[18:19], v[130:131], -0.5, v[18:19]
	v_fma_f64 v[108:109], v[84:85], s[2:3], v[108:109]
	v_fma_f64 v[84:85], v[84:85], s[4:5], v[20:21]
	v_add_f64 v[20:21], v[30:31], v[56:57]
	v_add_f64 v[22:23], v[72:73], v[58:59]
	v_fma_f64 v[56:57], v[96:97], s[4:5], v[76:77]
	v_fma_f64 v[24:25], v[26:27], s[0:1], v[74:75]
	;; [unrolled: 1-line block ×4, first 2 shown]
	v_add_f64 v[76:77], v[12:13], v[40:41]
	v_fma_f64 v[78:79], v[110:111], -0.5, v[12:13]
	v_add_f64 v[86:87], v[42:43], -v[94:95]
	v_fma_f64 v[30:31], v[100:101], s[0:1], v[88:89]
	v_fma_f64 v[58:59], v[96:97], s[2:3], v[90:91]
	;; [unrolled: 1-line block ×4, first 2 shown]
	v_add_f64 v[96:97], v[46:47], -v[82:83]
	v_fma_f64 v[12:13], v[112:113], -0.5, v[12:13]
	v_add_f64 v[100:101], v[122:123], v[126:127]
	v_add_f64 v[102:103], v[14:15], v[42:43]
	v_fma_f64 v[104:105], v[134:135], -0.5, v[14:15]
	v_add_f64 v[110:111], v[128:129], v[38:39]
	v_add_f64 v[112:113], v[44:45], -v[80:81]
	v_fma_f64 v[14:15], v[140:141], -0.5, v[14:15]
	v_add_f64 v[126:127], v[40:41], -v[44:45]
	v_add_f64 v[128:129], v[92:93], -v[80:81]
	v_add_f64 v[72:73], v[106:107], v[48:49]
	v_add_f64 v[74:75], v[118:119], v[120:121]
	v_add_f64 v[106:107], v[40:41], -v[92:93]
	v_add_f64 v[118:119], v[54:55], -v[38:39]
	;; [unrolled: 1-line block ×3, first 2 shown]
	v_add_f64 v[76:77], v[76:77], v[44:45]
	v_add_f64 v[38:39], v[38:39], -v[54:55]
	v_fma_f64 v[124:125], v[86:87], s[12:13], v[78:79]
	v_add_f64 v[54:55], v[50:51], -v[34:35]
	v_add_f64 v[40:41], v[44:45], -v[40:41]
	;; [unrolled: 1-line block ×3, first 2 shown]
	v_fma_f64 v[98:99], v[98:99], s[4:5], v[16:17]
	v_fma_f64 v[16:17], v[68:69], s[0:1], v[84:85]
	v_add_f64 v[134:135], v[42:43], -v[46:47]
	v_add_f64 v[42:43], v[46:47], -v[42:43]
	v_add_f64 v[102:103], v[102:103], v[46:47]
	v_fma_f64 v[122:123], v[36:37], s[12:13], v[18:19]
	v_add_f64 v[50:51], v[110:111], v[50:51]
	v_fma_f64 v[18:19], v[36:37], s[14:15], v[18:19]
	v_fma_f64 v[110:111], v[112:113], s[12:13], v[14:15]
	;; [unrolled: 1-line block ×3, first 2 shown]
	v_add_f64 v[84:85], v[126:127], v[128:129]
	v_fma_f64 v[48:49], v[116:117], s[2:3], v[132:133]
	v_fma_f64 v[130:131], v[96:97], s[14:15], v[12:13]
	;; [unrolled: 1-line block ×5, first 2 shown]
	v_add_f64 v[76:77], v[76:77], v[80:81]
	v_fma_f64 v[12:13], v[68:69], s[0:1], v[108:109]
	v_fma_f64 v[80:81], v[96:97], s[2:3], v[124:125]
	;; [unrolled: 1-line block ×4, first 2 shown]
	v_add_f64 v[140:141], v[94:95], -v[82:83]
	v_fma_f64 v[78:79], v[86:87], s[14:15], v[78:79]
	v_add_f64 v[118:119], v[118:119], v[120:121]
	v_add_f64 v[54:55], v[38:39], v[54:55]
	v_add_f64 v[108:109], v[40:41], v[44:45]
	v_add_f64 v[82:83], v[102:103], v[82:83]
	v_fma_f64 v[68:69], v[52:53], s[4:5], v[122:123]
	v_add_f64 v[122:123], v[42:43], v[142:143]
	v_fma_f64 v[52:53], v[52:53], s[2:3], v[18:19]
	v_fma_f64 v[110:111], v[106:107], s[4:5], v[110:111]
	;; [unrolled: 1-line block ×5, first 2 shown]
	v_add_f64 v[32:33], v[72:73], v[32:33]
	v_fma_f64 v[102:103], v[112:113], s[4:5], v[46:47]
	v_fma_f64 v[104:105], v[112:113], s[2:3], v[104:105]
	v_add_f64 v[34:35], v[50:51], v[34:35]
	v_fma_f64 v[44:45], v[100:101], s[0:1], v[90:91]
	v_fma_f64 v[40:41], v[74:75], s[0:1], v[88:89]
	;; [unrolled: 1-line block ×3, first 2 shown]
	buffer_load_dword v80, off, s[20:23], 0 offset:500 ; 4-byte Folded Reload
	v_fma_f64 v[116:117], v[36:37], s[4:5], v[116:117]
	v_fma_f64 v[114:115], v[36:37], s[2:3], v[114:115]
	v_add_f64 v[120:121], v[134:135], v[140:141]
	v_fma_f64 v[78:79], v[96:97], s[4:5], v[78:79]
	v_fma_f64 v[96:97], v[86:87], s[2:3], v[130:131]
	;; [unrolled: 1-line block ×7, first 2 shown]
	v_add_f64 v[52:53], v[76:77], v[92:93]
	v_add_f64 v[54:55], v[82:83], v[94:95]
	v_fma_f64 v[74:75], v[122:123], s[0:1], v[110:111]
	s_waitcnt vmcnt(0)
	ds_write_b128 v80, v[20:23]
	ds_write_b128 v80, v[24:27] offset:400
	ds_write_b128 v80, v[12:15] offset:800
	;; [unrolled: 1-line block ×4, first 2 shown]
	buffer_load_dword v12, off, s[20:23], 0 offset:504 ; 4-byte Folded Reload
	v_fma_f64 v[38:39], v[118:119], s[0:1], v[116:117]
	v_fma_f64 v[42:43], v[118:119], s[0:1], v[114:115]
	;; [unrolled: 1-line block ×8, first 2 shown]
	s_waitcnt vmcnt(0)
	ds_write_b128 v12, v[32:35]
	ds_write_b128 v12, v[36:39] offset:400
	ds_write_b128 v12, v[44:47] offset:800
	;; [unrolled: 1-line block ×4, first 2 shown]
	ds_write_b128 v139, v[52:55]
	ds_write_b128 v139, v[56:59] offset:400
	ds_write_b128 v139, v[72:75] offset:800
	;; [unrolled: 1-line block ×4, first 2 shown]
	s_and_saveexec_b32 s16, vcc_lo
	s_cbranch_execz .LBB0_29
; %bb.28:
	s_clause 0xf
	buffer_load_dword v32, off, s[20:23], 0 offset:528
	buffer_load_dword v33, off, s[20:23], 0 offset:532
	;; [unrolled: 1-line block ×16, first 2 shown]
	s_waitcnt vmcnt(12)
	v_mul_f64 v[12:13], v[34:35], v[8:9]
	s_waitcnt vmcnt(8)
	v_mul_f64 v[14:15], v[30:31], v[4:5]
	;; [unrolled: 2-line block ×4, first 2 shown]
	v_mul_f64 v[20:21], v[34:35], v[10:11]
	v_mul_f64 v[22:23], v[38:39], v[62:63]
	;; [unrolled: 1-line block ×4, first 2 shown]
	v_fma_f64 v[10:11], v[32:33], v[10:11], -v[12:13]
	v_fma_f64 v[6:7], v[28:29], v[6:7], -v[14:15]
	v_fma_f64 v[12:13], v[40:41], v[66:67], -v[16:17]
	v_fma_f64 v[14:15], v[36:37], v[62:63], -v[18:19]
	v_fma_f64 v[8:9], v[32:33], v[8:9], v[20:21]
	v_fma_f64 v[16:17], v[36:37], v[60:61], v[22:23]
	;; [unrolled: 1-line block ×4, first 2 shown]
	v_add_f64 v[32:33], v[2:3], v[6:7]
	v_add_f64 v[20:21], v[6:7], v[12:13]
	v_add_f64 v[22:23], v[10:11], v[14:15]
	v_add_f64 v[36:37], v[6:7], -v[12:13]
	v_add_f64 v[24:25], v[8:9], v[16:17]
	v_add_f64 v[28:29], v[8:9], -v[16:17]
	v_add_f64 v[26:27], v[4:5], v[18:19]
	;; [unrolled: 2-line block ×3, first 2 shown]
	v_add_f64 v[38:39], v[14:15], -v[12:13]
	v_add_f64 v[40:41], v[12:13], -v[14:15]
	;; [unrolled: 1-line block ×6, first 2 shown]
	v_fma_f64 v[20:21], v[20:21], -0.5, v[2:3]
	v_fma_f64 v[2:3], v[22:23], -0.5, v[2:3]
	v_add_f64 v[22:23], v[10:11], -v[14:15]
	v_fma_f64 v[24:25], v[24:25], -0.5, v[0:1]
	v_fma_f64 v[0:1], v[26:27], -0.5, v[0:1]
	v_add_f64 v[26:27], v[10:11], -v[6:7]
	v_add_f64 v[6:7], v[6:7], -v[10:11]
	v_add_f64 v[10:11], v[32:33], v[10:11]
	v_add_f64 v[8:9], v[34:35], v[8:9]
	v_fma_f64 v[32:33], v[28:29], s[14:15], v[20:21]
	v_fma_f64 v[20:21], v[28:29], s[12:13], v[20:21]
	;; [unrolled: 1-line block ×7, first 2 shown]
	v_add_f64 v[26:27], v[26:27], v[38:39]
	v_add_f64 v[38:39], v[6:7], v[40:41]
	v_add_f64 v[40:41], v[42:43], v[44:45]
	v_add_f64 v[42:43], v[4:5], v[46:47]
	v_add_f64 v[4:5], v[10:11], v[14:15]
	v_add_f64 v[6:7], v[8:9], v[16:17]
	v_fma_f64 v[24:25], v[36:37], s[14:15], v[24:25]
	v_fma_f64 v[8:9], v[30:31], s[2:3], v[32:33]
	;; [unrolled: 1-line block ×8, first 2 shown]
	v_add_f64 v[2:3], v[4:5], v[12:13]
	v_add_f64 v[0:1], v[6:7], v[18:19]
	v_fma_f64 v[22:23], v[22:23], s[4:5], v[24:25]
	v_fma_f64 v[6:7], v[26:27], s[0:1], v[8:9]
	;; [unrolled: 1-line block ×6, first 2 shown]
	buffer_load_dword v21, off, s[20:23], 0 offset:480 ; 4-byte Folded Reload
	v_fma_f64 v[8:9], v[40:41], s[0:1], v[28:29]
	v_fma_f64 v[4:5], v[40:41], s[0:1], v[30:31]
	v_mov_b32_e32 v20, 4
	v_fma_f64 v[12:13], v[42:43], s[0:1], v[22:23]
	s_waitcnt vmcnt(0)
	v_lshlrev_b32_sdwa v20, v20, v21 dst_sel:DWORD dst_unused:UNUSED_PAD src0_sel:DWORD src1_sel:WORD_0
	ds_write_b128 v20, v[0:3] offset:30000
	ds_write_b128 v20, v[16:19] offset:30400
	;; [unrolled: 1-line block ×5, first 2 shown]
.LBB0_29:
	s_or_b32 exec_lo, exec_lo, s16
	s_waitcnt lgkmcnt(0)
	s_barrier
	buffer_gl0_inv
	ds_read_b128 v[0:3], v136 offset:2000
	ds_read_b128 v[4:7], v136 offset:4000
	;; [unrolled: 1-line block ×5, first 2 shown]
	ds_read_b128 v[20:23], v136
	ds_read_b128 v[24:27], v136 offset:12000
	ds_read_b128 v[28:31], v136 offset:14000
	;; [unrolled: 1-line block ×10, first 2 shown]
	s_mov_b32 s0, 0x667f3bcd
	s_mov_b32 s1, 0xbfe6a09e
	;; [unrolled: 1-line block ×7, first 2 shown]
	s_waitcnt lgkmcnt(15)
	v_mul_f64 v[64:65], v[202:203], v[2:3]
	v_mul_f64 v[66:67], v[202:203], v[0:1]
	s_waitcnt lgkmcnt(14)
	v_mul_f64 v[68:69], v[194:195], v[6:7]
	v_mul_f64 v[70:71], v[194:195], v[4:5]
	;; [unrolled: 3-line block ×8, first 2 shown]
	v_mul_f64 v[76:77], v[190:191], v[14:15]
	v_mul_f64 v[78:79], v[190:191], v[12:13]
	s_waitcnt lgkmcnt(0)
	v_mul_f64 v[100:101], v[246:247], v[60:61]
	v_mul_f64 v[102:103], v[246:247], v[62:63]
	s_mov_b32 s14, s4
	s_mov_b32 s12, 0xa6aea964
	v_fma_f64 v[0:1], v[200:201], v[0:1], v[64:65]
	v_fma_f64 v[2:3], v[200:201], v[2:3], -v[66:67]
	v_mul_f64 v[64:65], v[230:231], v[58:59]
	v_mul_f64 v[66:67], v[230:231], v[56:57]
	v_fma_f64 v[4:5], v[192:193], v[4:5], v[68:69]
	v_fma_f64 v[6:7], v[192:193], v[6:7], -v[70:71]
	v_fma_f64 v[8:9], v[196:197], v[8:9], v[72:73]
	v_fma_f64 v[10:11], v[196:197], v[10:11], -v[74:75]
	v_mul_f64 v[68:69], v[234:235], v[38:39]
	v_mul_f64 v[70:71], v[234:235], v[36:37]
	;; [unrolled: 1-line block ×4, first 2 shown]
	v_fma_f64 v[16:17], v[208:209], v[16:17], v[80:81]
	v_fma_f64 v[18:19], v[208:209], v[18:19], -v[82:83]
	v_mul_f64 v[80:81], v[242:243], v[50:51]
	v_mul_f64 v[82:83], v[242:243], v[48:49]
	v_fma_f64 v[24:25], v[204:205], v[24:25], v[84:85]
	v_fma_f64 v[26:27], v[204:205], v[26:27], -v[86:87]
	v_mul_f64 v[84:85], v[214:215], v[30:31]
	v_mul_f64 v[86:87], v[214:215], v[28:29]
	v_fma_f64 v[32:33], v[220:221], v[32:33], v[88:89]
	v_fma_f64 v[34:35], v[220:221], v[34:35], -v[90:91]
	v_fma_f64 v[44:45], v[216:217], v[44:45], v[96:97]
	v_fma_f64 v[46:47], v[216:217], v[46:47], -v[98:99]
	;; [unrolled: 2-line block ×7, first 2 shown]
	v_fma_f64 v[62:63], v[244:245], v[62:63], -v[100:101]
	v_fma_f64 v[60:61], v[244:245], v[60:61], v[102:103]
	v_fma_f64 v[48:49], v[240:241], v[48:49], v[80:81]
	v_fma_f64 v[50:51], v[240:241], v[50:51], -v[82:83]
	s_mov_b32 s13, 0x3fd87de2
	s_mov_b32 s17, 0xbfd87de2
	v_fma_f64 v[28:29], v[212:213], v[28:29], v[84:85]
	v_fma_f64 v[30:31], v[212:213], v[30:31], -v[86:87]
	v_add_f64 v[32:33], v[20:21], -v[32:33]
	v_add_f64 v[34:35], v[22:23], -v[34:35]
	v_add_f64 v[44:45], v[8:9], -v[44:45]
	v_add_f64 v[46:47], v[10:11], -v[46:47]
	v_add_f64 v[40:41], v[4:5], -v[40:41]
	v_add_f64 v[42:43], v[6:7], -v[42:43]
	v_add_f64 v[56:57], v[24:25], -v[56:57]
	v_add_f64 v[58:59], v[26:27], -v[58:59]
	s_mov_b32 s16, s12
	v_add_f64 v[36:37], v[0:1], -v[36:37]
	v_add_f64 v[38:39], v[2:3], -v[38:39]
	;; [unrolled: 1-line block ×8, first 2 shown]
	v_fma_f64 v[20:21], v[20:21], 2.0, -v[32:33]
	v_fma_f64 v[22:23], v[22:23], 2.0, -v[34:35]
	v_fma_f64 v[8:9], v[8:9], 2.0, -v[44:45]
	v_fma_f64 v[10:11], v[10:11], 2.0, -v[46:47]
	v_fma_f64 v[4:5], v[4:5], 2.0, -v[40:41]
	v_fma_f64 v[6:7], v[6:7], 2.0, -v[42:43]
	v_fma_f64 v[24:25], v[24:25], 2.0, -v[56:57]
	v_fma_f64 v[26:27], v[26:27], 2.0, -v[58:59]
	v_add_f64 v[46:47], v[32:33], v[46:47]
	v_add_f64 v[44:45], v[34:35], -v[44:45]
	v_add_f64 v[58:59], v[40:41], v[58:59]
	v_add_f64 v[56:57], v[42:43], -v[56:57]
	v_fma_f64 v[16:17], v[16:17], 2.0, -v[52:53]
	v_fma_f64 v[18:19], v[18:19], 2.0, -v[54:55]
	v_add_f64 v[54:55], v[36:37], v[54:55]
	v_add_f64 v[52:53], v[38:39], -v[52:53]
	v_fma_f64 v[0:1], v[0:1], 2.0, -v[36:37]
	v_fma_f64 v[2:3], v[2:3], 2.0, -v[38:39]
	v_fma_f64 v[12:13], v[12:13], 2.0, -v[48:49]
	v_fma_f64 v[14:15], v[14:15], 2.0, -v[50:51]
	v_add_f64 v[66:67], v[50:51], -v[60:61]
	v_add_f64 v[64:65], v[48:49], v[62:63]
	v_fma_f64 v[28:29], v[28:29], 2.0, -v[60:61]
	v_fma_f64 v[30:31], v[30:31], 2.0, -v[62:63]
	v_add_f64 v[8:9], v[20:21], -v[8:9]
	v_add_f64 v[10:11], v[22:23], -v[10:11]
	v_add_f64 v[24:25], v[4:5], -v[24:25]
	v_add_f64 v[26:27], v[6:7], -v[26:27]
	v_fma_f64 v[32:33], v[32:33], 2.0, -v[46:47]
	v_fma_f64 v[34:35], v[34:35], 2.0, -v[44:45]
	;; [unrolled: 1-line block ×4, first 2 shown]
	v_fma_f64 v[60:61], v[58:59], s[2:3], v[46:47]
	v_fma_f64 v[62:63], v[56:57], s[2:3], v[44:45]
	v_fma_f64 v[36:37], v[36:37], 2.0, -v[54:55]
	v_fma_f64 v[38:39], v[38:39], 2.0, -v[52:53]
	v_add_f64 v[16:17], v[0:1], -v[16:17]
	v_add_f64 v[18:19], v[2:3], -v[18:19]
	v_fma_f64 v[50:51], v[50:51], 2.0, -v[66:67]
	v_fma_f64 v[48:49], v[48:49], 2.0, -v[64:65]
	v_add_f64 v[28:29], v[12:13], -v[28:29]
	v_add_f64 v[30:31], v[14:15], -v[30:31]
	v_fma_f64 v[20:21], v[20:21], 2.0, -v[8:9]
	v_fma_f64 v[22:23], v[22:23], 2.0, -v[10:11]
	v_fma_f64 v[68:69], v[64:65], s[2:3], v[54:55]
	v_fma_f64 v[70:71], v[66:67], s[2:3], v[52:53]
	v_fma_f64 v[4:5], v[4:5], 2.0, -v[24:25]
	v_fma_f64 v[6:7], v[6:7], 2.0, -v[26:27]
	v_add_f64 v[80:81], v[8:9], v[26:27]
	v_add_f64 v[82:83], v[10:11], -v[24:25]
	v_fma_f64 v[72:73], v[40:41], s[0:1], v[32:33]
	v_fma_f64 v[74:75], v[42:43], s[0:1], v[34:35]
	;; [unrolled: 1-line block ×4, first 2 shown]
	v_fma_f64 v[0:1], v[0:1], 2.0, -v[16:17]
	v_fma_f64 v[2:3], v[2:3], 2.0, -v[18:19]
	v_fma_f64 v[78:79], v[50:51], s[0:1], v[38:39]
	v_fma_f64 v[76:77], v[48:49], s[0:1], v[36:37]
	v_fma_f64 v[12:13], v[12:13], 2.0, -v[28:29]
	v_fma_f64 v[14:15], v[14:15], 2.0, -v[30:31]
	v_fma_f64 v[24:25], v[66:67], s[2:3], v[68:69]
	v_fma_f64 v[26:27], v[64:65], s[0:1], v[70:71]
	v_add_f64 v[84:85], v[20:21], -v[4:5]
	v_add_f64 v[86:87], v[22:23], -v[6:7]
	v_add_f64 v[6:7], v[16:17], v[30:31]
	v_add_f64 v[4:5], v[18:19], -v[28:29]
	v_fma_f64 v[60:61], v[42:43], s[2:3], v[72:73]
	v_fma_f64 v[62:63], v[40:41], s[0:1], v[74:75]
	v_fma_f64 v[68:69], v[46:47], 2.0, -v[56:57]
	v_fma_f64 v[70:71], v[44:45], 2.0, -v[58:59]
	v_fma_f64 v[30:31], v[48:49], s[0:1], v[78:79]
	v_fma_f64 v[28:29], v[50:51], s[2:3], v[76:77]
	v_add_f64 v[12:13], v[0:1], -v[12:13]
	v_add_f64 v[14:15], v[2:3], -v[14:15]
	v_fma_f64 v[48:49], v[8:9], 2.0, -v[80:81]
	v_fma_f64 v[50:51], v[10:11], 2.0, -v[82:83]
	;; [unrolled: 1-line block ×10, first 2 shown]
	v_fma_f64 v[8:9], v[6:7], s[2:3], v[80:81]
	v_fma_f64 v[10:11], v[4:5], s[2:3], v[82:83]
	;; [unrolled: 1-line block ×3, first 2 shown]
	v_fma_f64 v[34:35], v[38:39], 2.0, -v[30:31]
	v_fma_f64 v[32:33], v[36:37], 2.0, -v[28:29]
	v_fma_f64 v[38:39], v[24:25], s[14:15], v[56:57]
	v_fma_f64 v[18:19], v[0:1], 2.0, -v[12:13]
	v_fma_f64 v[36:37], v[2:3], 2.0, -v[14:15]
	v_fma_f64 v[76:77], v[28:29], s[12:13], v[60:61]
	v_fma_f64 v[78:79], v[30:31], s[12:13], v[62:63]
	v_fma_f64 v[54:55], v[40:41], s[16:17], v[70:71]
	v_add_f64 v[0:1], v[84:85], v[14:15]
	v_add_f64 v[2:3], v[86:87], -v[12:13]
	v_fma_f64 v[44:45], v[20:21], s[0:1], v[48:49]
	v_fma_f64 v[46:47], v[16:17], s[0:1], v[50:51]
	;; [unrolled: 1-line block ×9, first 2 shown]
	v_add_f64 v[12:13], v[64:65], -v[18:19]
	v_add_f64 v[14:15], v[66:67], -v[36:37]
	v_fma_f64 v[24:25], v[30:31], s[14:15], v[76:77]
	v_fma_f64 v[26:27], v[28:29], s[4:5], v[78:79]
	;; [unrolled: 1-line block ×3, first 2 shown]
	s_mov_b32 s4, 0xd2f1a9fc
	s_mov_b32 s5, 0x3f40624d
	v_fma_f64 v[16:17], v[16:17], s[2:3], v[44:45]
	v_fma_f64 v[18:19], v[20:21], s[0:1], v[46:47]
	;; [unrolled: 1-line block ×3, first 2 shown]
	s_mul_i32 s1, s9, 0x190
	s_mul_hi_u32 s2, s8, 0x190
	v_fma_f64 v[36:37], v[80:81], 2.0, -v[4:5]
	v_fma_f64 v[38:39], v[82:83], 2.0, -v[6:7]
	;; [unrolled: 1-line block ×3, first 2 shown]
	s_mul_i32 s0, s8, 0x190
	s_add_i32 s1, s2, s1
	s_lshl_b64 s[2:3], s[0:1], 4
	v_fma_f64 v[30:31], v[32:33], s[16:17], v[90:91]
	v_fma_f64 v[28:29], v[34:35], s[12:13], v[88:89]
	v_fma_f64 v[32:33], v[84:85], 2.0, -v[0:1]
	v_fma_f64 v[34:35], v[86:87], 2.0, -v[2:3]
	v_fma_f64 v[40:41], v[56:57], 2.0, -v[8:9]
	v_fma_f64 v[44:45], v[64:65], 2.0, -v[12:13]
	v_fma_f64 v[46:47], v[66:67], 2.0, -v[14:15]
	v_fma_f64 v[54:55], v[70:71], 2.0, -v[22:23]
	v_fma_f64 v[56:57], v[60:61], 2.0, -v[24:25]
	v_fma_f64 v[58:59], v[62:63], 2.0, -v[26:27]
	v_fma_f64 v[48:49], v[48:49], 2.0, -v[16:17]
	v_fma_f64 v[50:51], v[50:51], 2.0, -v[18:19]
	v_fma_f64 v[52:53], v[68:69], 2.0, -v[20:21]
	s_mul_i32 s1, s9, 0xfffffa3d
	v_fma_f64 v[62:63], v[74:75], 2.0, -v[30:31]
	v_fma_f64 v[60:61], v[72:73], 2.0, -v[28:29]
	ds_write_b128 v136, v[0:3] offset:24000
	ds_write_b128 v136, v[4:7] offset:28000
	;; [unrolled: 1-line block ×10, first 2 shown]
	ds_write_b128 v136, v[44:47]
	ds_write_b128 v136, v[48:51] offset:4000
	ds_write_b128 v136, v[52:55] offset:6000
	;; [unrolled: 1-line block ×5, first 2 shown]
	s_waitcnt lgkmcnt(0)
	s_barrier
	buffer_gl0_inv
	ds_read_b128 v[0:3], v136
	ds_read_b128 v[4:7], v136 offset:6400
	ds_read_b128 v[8:11], v136 offset:12800
	s_clause 0x2
	buffer_load_dword v12, off, s[20:23], 0 offset:40
	buffer_load_dword v13, off, s[20:23], 0 offset:44
	;; [unrolled: 1-line block ×3, first 2 shown]
	s_waitcnt vmcnt(2)
	v_mov_b32_e32 v33, v12
	s_waitcnt vmcnt(1)
	ds_read_b128 v[12:15], v136 offset:19200
	ds_read_b128 v[16:19], v136 offset:2000
	;; [unrolled: 1-line block ×4, first 2 shown]
	s_clause 0x3
	buffer_load_dword v65, off, s[20:23], 0 offset:24
	buffer_load_dword v66, off, s[20:23], 0 offset:28
	;; [unrolled: 1-line block ×4, first 2 shown]
	ds_read_b128 v[28:31], v136 offset:25600
	s_waitcnt vmcnt(4)
	v_mad_u64_u32 v[42:43], null, s8, v34, 0
	v_mad_u64_u32 v[40:41], null, s10, v33, 0
	v_mov_b32_e32 v32, v41
	v_mad_u64_u32 v[32:33], null, s11, v33, v[32:33]
	v_mov_b32_e32 v33, v43
	;; [unrolled: 2-line block ×3, first 2 shown]
	v_mov_b32_e32 v43, v56
	s_waitcnt vmcnt(0) lgkmcnt(7)
	v_mul_f64 v[44:45], v[67:68], v[2:3]
	v_mul_f64 v[46:47], v[67:68], v[0:1]
	s_clause 0x7
	buffer_load_dword v67, off, s[20:23], 0 offset:164
	buffer_load_dword v68, off, s[20:23], 0 offset:168
	;; [unrolled: 1-line block ×8, first 2 shown]
	ds_read_b128 v[32:35], v136 offset:27600
	ds_read_b128 v[36:39], v136 offset:16800
	v_fma_f64 v[44:45], v[65:66], v[0:1], v[44:45]
	v_fma_f64 v[46:47], v[65:66], v[2:3], -v[46:47]
	s_waitcnt vmcnt(4) lgkmcnt(8)
	v_mul_f64 v[48:49], v[69:70], v[6:7]
	v_mul_f64 v[50:51], v[69:70], v[4:5]
	s_clause 0x3
	buffer_load_dword v69, off, s[20:23], 0 offset:132
	buffer_load_dword v70, off, s[20:23], 0 offset:136
	;; [unrolled: 1-line block ×4, first 2 shown]
	s_waitcnt vmcnt(4) lgkmcnt(7)
	v_mul_f64 v[52:53], v[75:76], v[10:11]
	v_mul_f64 v[54:55], v[75:76], v[8:9]
	s_clause 0x3
	buffer_load_dword v75, off, s[20:23], 0 offset:148
	buffer_load_dword v76, off, s[20:23], 0 offset:152
	;; [unrolled: 1-line block ×4, first 2 shown]
	ds_read_b128 v[0:3], v136 offset:8400
	v_fma_f64 v[48:49], v[67:68], v[4:5], v[48:49]
	v_lshlrev_b64 v[4:5], 4, v[40:41]
	v_lshlrev_b64 v[40:41], 4, v[42:43]
	v_fma_f64 v[52:53], v[73:74], v[8:9], v[52:53]
	v_fma_f64 v[54:55], v[73:74], v[10:11], -v[54:55]
	v_fma_f64 v[50:51], v[67:68], v[6:7], -v[50:51]
	v_mul_f64 v[6:7], v[46:47], s[4:5]
	v_add_co_u32 v67, s0, s6, v4
	v_add_co_ci_u32_e64 v68, s0, s7, v5, s0
	v_mul_f64 v[4:5], v[44:45], s[4:5]
	v_mul_f64 v[8:9], v[48:49], s[4:5]
	;; [unrolled: 1-line block ×3, first 2 shown]
	s_waitcnt vmcnt(4) lgkmcnt(7)
	v_mul_f64 v[57:58], v[71:72], v[14:15]
	v_mul_f64 v[59:60], v[71:72], v[12:13]
	s_clause 0x3
	buffer_load_dword v71, off, s[20:23], 0 offset:52
	buffer_load_dword v72, off, s[20:23], 0 offset:56
	buffer_load_dword v73, off, s[20:23], 0 offset:60
	buffer_load_dword v74, off, s[20:23], 0 offset:64
	s_waitcnt vmcnt(4) lgkmcnt(3)
	v_mul_f64 v[61:62], v[77:78], v[30:31]
	v_mul_f64 v[63:64], v[77:78], v[28:29]
	v_fma_f64 v[42:43], v[69:70], v[12:13], v[57:58]
	v_fma_f64 v[56:57], v[69:70], v[14:15], -v[59:60]
	v_mul_f64 v[12:13], v[52:53], s[4:5]
	v_fma_f64 v[58:59], v[75:76], v[28:29], v[61:62]
	v_fma_f64 v[60:61], v[75:76], v[30:31], -v[63:64]
	ds_read_b128 v[28:31], v136 offset:10400
	v_mul_f64 v[14:15], v[54:55], s[4:5]
	v_add_co_u32 v52, s0, v67, v40
	v_add_co_ci_u32_e64 v53, s0, v68, v41, s0
	v_add_co_u32 v67, s0, v52, s2
	v_add_co_ci_u32_e64 v68, s0, s3, v53, s0
	v_mul_f64 v[40:41], v[42:43], s[4:5]
	v_mul_f64 v[42:43], v[56:57], s[4:5]
	v_add_co_u32 v56, s0, v67, s2
	v_add_co_ci_u32_e64 v57, s0, s3, v68, s0
	v_mul_f64 v[44:45], v[58:59], s[4:5]
	v_mul_f64 v[46:47], v[60:61], s[4:5]
	s_waitcnt vmcnt(0)
	v_mul_f64 v[65:66], v[73:74], v[18:19]
	v_mul_f64 v[62:63], v[73:74], v[16:17]
	s_clause 0x3
	buffer_load_dword v73, off, s[20:23], 0 offset:84
	buffer_load_dword v74, off, s[20:23], 0 offset:88
	;; [unrolled: 1-line block ×4, first 2 shown]
	ds_read_b128 v[48:51], v136 offset:21200
	global_store_dwordx4 v[52:53], v[4:7], off
	global_store_dwordx4 v[67:68], v[8:11], off
	;; [unrolled: 1-line block ×3, first 2 shown]
	v_add_co_u32 v4, s0, v56, s2
	v_add_co_ci_u32_e64 v5, s0, s3, v57, s0
	v_add_co_u32 v10, s0, v4, s2
	v_add_co_ci_u32_e64 v11, s0, s3, v5, s0
	s_mul_hi_u32 s0, s8, 0xfffffa3d
	s_sub_i32 s0, s0, s8
	s_add_i32 s1, s0, s1
	s_mul_i32 s0, s8, 0xfffffa3d
	s_lshl_b64 s[6:7], s[0:1], 4
	v_fma_f64 v[16:17], v[71:72], v[16:17], v[65:66]
	v_fma_f64 v[18:19], v[71:72], v[18:19], -v[62:63]
	s_clause 0x3
	buffer_load_dword v62, off, s[20:23], 0 offset:116
	buffer_load_dword v63, off, s[20:23], 0 offset:120
	;; [unrolled: 1-line block ×4, first 2 shown]
	global_store_dwordx4 v[4:5], v[40:43], off
	global_store_dwordx4 v[10:11], v[44:47], off
	ds_read_b128 v[4:7], v136 offset:23200
	s_clause 0x3
	buffer_load_dword v58, off, s[20:23], 0 offset:100
	buffer_load_dword v59, off, s[20:23], 0 offset:104
	;; [unrolled: 1-line block ×4, first 2 shown]
	ds_read_b128 v[12:15], v136 offset:29600
	s_waitcnt vmcnt(8) lgkmcnt(4)
	v_mul_f64 v[54:55], v[75:76], v[2:3]
	v_mul_f64 v[69:70], v[75:76], v[0:1]
	v_fma_f64 v[8:9], v[73:74], v[0:1], v[54:55]
	v_fma_f64 v[52:53], v[73:74], v[2:3], -v[69:70]
	s_clause 0x7
	buffer_load_dword v68, off, s[20:23], 0 offset:68
	buffer_load_dword v69, off, s[20:23], 0 offset:72
	buffer_load_dword v70, off, s[20:23], 0 offset:76
	buffer_load_dword v71, off, s[20:23], 0 offset:80
	buffer_load_dword v74, off, s[20:23], 0 offset:212
	buffer_load_dword v75, off, s[20:23], 0 offset:216
	buffer_load_dword v76, off, s[20:23], 0 offset:220
	buffer_load_dword v77, off, s[20:23], 0 offset:224
	s_waitcnt vmcnt(12)
	v_mul_f64 v[54:55], v[64:65], v[22:23]
	v_mul_f64 v[2:3], v[18:19], s[4:5]
	v_add_co_u32 v18, s0, v10, s6
	v_mul_f64 v[56:57], v[64:65], v[20:21]
	v_add_co_ci_u32_e64 v19, s0, s7, v11, s0
	v_mul_f64 v[0:1], v[16:17], s[4:5]
	s_waitcnt vmcnt(8) lgkmcnt(2)
	v_mul_f64 v[16:17], v[60:61], v[50:51]
	v_mul_f64 v[40:41], v[60:61], v[48:49]
	v_add_co_u32 v46, s0, v18, s2
	v_add_co_ci_u32_e64 v47, s0, s3, v19, s0
	v_mul_f64 v[8:9], v[8:9], s[4:5]
	v_mul_f64 v[10:11], v[52:53], s[4:5]
	v_fma_f64 v[20:21], v[62:63], v[20:21], v[54:55]
	v_fma_f64 v[22:23], v[62:63], v[22:23], -v[56:57]
	v_fma_f64 v[16:17], v[58:59], v[48:49], v[16:17]
	v_fma_f64 v[40:41], v[58:59], v[50:51], -v[40:41]
	s_waitcnt vmcnt(4)
	v_mul_f64 v[42:43], v[70:71], v[34:35]
	v_mul_f64 v[44:45], v[70:71], v[32:33]
	s_waitcnt vmcnt(0)
	v_mul_f64 v[52:53], v[76:77], v[26:27]
	v_mul_f64 v[54:55], v[76:77], v[24:25]
	s_clause 0x7
	buffer_load_dword v70, off, s[20:23], 0 offset:196
	buffer_load_dword v71, off, s[20:23], 0 offset:200
	;; [unrolled: 1-line block ×8, first 2 shown]
	s_waitcnt vmcnt(4)
	v_mul_f64 v[48:49], v[72:73], v[30:31]
	s_waitcnt vmcnt(0)
	v_mul_f64 v[56:57], v[78:79], v[38:39]
	v_mul_f64 v[58:59], v[78:79], v[36:37]
	s_clause 0x3
	buffer_load_dword v78, off, s[20:23], 0 offset:244
	buffer_load_dword v79, off, s[20:23], 0 offset:248
	;; [unrolled: 1-line block ×4, first 2 shown]
	v_mul_f64 v[50:51], v[72:73], v[28:29]
	s_waitcnt vmcnt(0) lgkmcnt(1)
	v_mul_f64 v[60:61], v[80:81], v[6:7]
	v_mul_f64 v[62:63], v[80:81], v[4:5]
	s_clause 0x3
	buffer_load_dword v80, off, s[20:23], 0 offset:260
	buffer_load_dword v81, off, s[20:23], 0 offset:264
	;; [unrolled: 1-line block ×4, first 2 shown]
	global_store_dwordx4 v[18:19], v[0:3], off
	global_store_dwordx4 v[46:47], v[8:11], off
	v_mul_f64 v[0:1], v[20:21], s[4:5]
	v_mul_f64 v[2:3], v[22:23], s[4:5]
	v_fma_f64 v[18:19], v[68:69], v[32:33], v[42:43]
	v_fma_f64 v[20:21], v[68:69], v[34:35], -v[44:45]
	v_fma_f64 v[22:23], v[74:75], v[24:25], v[52:53]
	v_fma_f64 v[24:25], v[74:75], v[26:27], -v[54:55]
	v_mul_f64 v[8:9], v[16:17], s[4:5]
	v_fma_f64 v[16:17], v[70:71], v[28:29], v[48:49]
	v_fma_f64 v[26:27], v[70:71], v[30:31], -v[50:51]
	v_add_co_u32 v32, s0, v46, s2
	v_fma_f64 v[28:29], v[76:77], v[36:37], v[56:57]
	v_fma_f64 v[30:31], v[76:77], v[38:39], -v[58:59]
	v_add_co_ci_u32_e64 v33, s0, s3, v47, s0
	v_mul_f64 v[10:11], v[40:41], s[4:5]
	v_add_co_u32 v42, s0, v32, s2
	v_fma_f64 v[34:35], v[78:79], v[4:5], v[60:61]
	v_fma_f64 v[36:37], v[78:79], v[6:7], -v[62:63]
	v_add_co_ci_u32_e64 v43, s0, s3, v33, s0
	v_add_co_u32 v44, s0, v42, s2
	v_mul_f64 v[4:5], v[18:19], s[4:5]
	v_add_co_ci_u32_e64 v45, s0, s3, v43, s0
	v_add_co_u32 v46, s0, v44, s6
	v_mul_f64 v[6:7], v[20:21], s[4:5]
	v_add_co_ci_u32_e64 v47, s0, s7, v45, s0
	v_mul_f64 v[16:17], v[16:17], s[4:5]
	v_mul_f64 v[18:19], v[26:27], s[4:5]
	;; [unrolled: 1-line block ×3, first 2 shown]
	global_store_dwordx4 v[32:33], v[0:3], off
	global_store_dwordx4 v[42:43], v[8:11], off
	v_mul_f64 v[26:27], v[36:37], s[4:5]
	global_store_dwordx4 v[44:45], v[4:7], off
	s_waitcnt vmcnt(0) lgkmcnt(0)
	v_mul_f64 v[64:65], v[82:83], v[14:15]
	v_mul_f64 v[66:67], v[82:83], v[12:13]
	v_fma_f64 v[38:39], v[80:81], v[12:13], v[64:65]
	v_fma_f64 v[40:41], v[80:81], v[14:15], -v[66:67]
	v_mul_f64 v[12:13], v[22:23], s[4:5]
	v_mul_f64 v[14:15], v[24:25], s[4:5]
	;; [unrolled: 1-line block ×3, first 2 shown]
	v_add_co_u32 v34, s0, v46, s2
	v_mul_f64 v[22:23], v[30:31], s[4:5]
	v_add_co_ci_u32_e64 v35, s0, s3, v47, s0
	v_add_co_u32 v2, s0, v34, s2
	v_add_co_ci_u32_e64 v3, s0, s3, v35, s0
	v_add_co_u32 v8, s0, v2, s2
	;; [unrolled: 2-line block ×3, first 2 shown]
	v_mul_f64 v[28:29], v[38:39], s[4:5]
	v_mul_f64 v[30:31], v[40:41], s[4:5]
	v_add_co_ci_u32_e64 v1, s0, s3, v9, s0
	global_store_dwordx4 v[46:47], v[12:15], off
	global_store_dwordx4 v[34:35], v[16:19], off
	;; [unrolled: 1-line block ×5, first 2 shown]
	s_and_b32 exec_lo, exec_lo, vcc_lo
	s_cbranch_execz .LBB0_31
; %bb.30:
	v_add_co_u32 v2, vcc_lo, 0x1000, v137
	v_add_co_ci_u32_e32 v3, vcc_lo, 0, v138, vcc_lo
	global_load_dwordx4 v[2:5], v[2:3], off offset:1904
	ds_read_b128 v[6:9], v136 offset:6000
	ds_read_b128 v[10:13], v136 offset:12400
	s_waitcnt vmcnt(0) lgkmcnt(1)
	v_mul_f64 v[14:15], v[8:9], v[4:5]
	v_mul_f64 v[4:5], v[6:7], v[4:5]
	v_fma_f64 v[6:7], v[6:7], v[2:3], v[14:15]
	v_fma_f64 v[4:5], v[2:3], v[8:9], -v[4:5]
	v_mul_f64 v[2:3], v[6:7], s[4:5]
	v_mul_f64 v[4:5], v[4:5], s[4:5]
	v_add_co_u32 v6, vcc_lo, v0, s6
	v_add_co_ci_u32_e32 v7, vcc_lo, s7, v1, vcc_lo
	global_store_dwordx4 v[6:7], v[2:5], off
	s_clause 0x1
	buffer_load_dword v0, off, s[20:23], 0 offset:16
	buffer_load_dword v1, off, s[20:23], 0 offset:20
	s_waitcnt vmcnt(0)
	global_load_dwordx4 v[0:3], v[0:1], off offset:112
	s_waitcnt vmcnt(0) lgkmcnt(0)
	v_mul_f64 v[4:5], v[12:13], v[2:3]
	v_mul_f64 v[2:3], v[10:11], v[2:3]
	v_fma_f64 v[4:5], v[10:11], v[0:1], v[4:5]
	v_fma_f64 v[2:3], v[0:1], v[12:13], -v[2:3]
	v_add_co_u32 v12, vcc_lo, v6, s2
	v_add_co_ci_u32_e32 v13, vcc_lo, s3, v7, vcc_lo
	v_mul_f64 v[0:1], v[4:5], s[4:5]
	v_mul_f64 v[2:3], v[2:3], s[4:5]
	global_store_dwordx4 v[12:13], v[0:3], off
	s_clause 0x1
	buffer_load_dword v0, off, s[20:23], 0 offset:8
	buffer_load_dword v1, off, s[20:23], 0 offset:12
	s_waitcnt vmcnt(0)
	global_load_dwordx4 v[0:3], v[0:1], off offset:368
	ds_read_b128 v[4:7], v136 offset:18800
	ds_read_b128 v[8:11], v136 offset:25200
	s_waitcnt vmcnt(0) lgkmcnt(1)
	v_mul_f64 v[14:15], v[6:7], v[2:3]
	v_mul_f64 v[2:3], v[4:5], v[2:3]
	v_fma_f64 v[4:5], v[4:5], v[0:1], v[14:15]
	v_fma_f64 v[2:3], v[0:1], v[6:7], -v[2:3]
	v_mul_f64 v[0:1], v[4:5], s[4:5]
	v_mul_f64 v[2:3], v[2:3], s[4:5]
	v_add_co_u32 v4, vcc_lo, v12, s2
	v_add_co_ci_u32_e32 v5, vcc_lo, s3, v13, vcc_lo
	global_store_dwordx4 v[4:5], v[0:3], off
	s_clause 0x1
	buffer_load_dword v0, off, s[20:23], 0
	buffer_load_dword v1, off, s[20:23], 0 offset:4
	s_waitcnt vmcnt(0)
	global_load_dwordx4 v[0:3], v[0:1], off offset:624
	s_waitcnt vmcnt(0) lgkmcnt(0)
	v_mul_f64 v[6:7], v[10:11], v[2:3]
	v_mul_f64 v[2:3], v[8:9], v[2:3]
	v_fma_f64 v[6:7], v[8:9], v[0:1], v[6:7]
	v_fma_f64 v[2:3], v[0:1], v[10:11], -v[2:3]
	v_add_co_u32 v8, vcc_lo, v4, s2
	v_add_co_ci_u32_e32 v9, vcc_lo, s3, v5, vcc_lo
	v_mul_f64 v[0:1], v[6:7], s[4:5]
	v_mul_f64 v[2:3], v[2:3], s[4:5]
	global_store_dwordx4 v[8:9], v[0:3], off
	s_clause 0x1
	buffer_load_dword v0, off, s[20:23], 0 offset:576
	buffer_load_dword v1, off, s[20:23], 0 offset:580
	ds_read_b128 v[4:7], v136 offset:31600
	s_waitcnt vmcnt(0)
	global_load_dwordx4 v[0:3], v[0:1], off offset:880
	s_waitcnt vmcnt(0) lgkmcnt(0)
	v_mul_f64 v[10:11], v[6:7], v[2:3]
	v_mul_f64 v[2:3], v[4:5], v[2:3]
	v_fma_f64 v[4:5], v[4:5], v[0:1], v[10:11]
	v_fma_f64 v[2:3], v[0:1], v[6:7], -v[2:3]
	v_mul_f64 v[0:1], v[4:5], s[4:5]
	v_mul_f64 v[2:3], v[2:3], s[4:5]
	v_add_co_u32 v4, vcc_lo, v8, s2
	v_add_co_ci_u32_e32 v5, vcc_lo, s3, v9, vcc_lo
	global_store_dwordx4 v[4:5], v[0:3], off
.LBB0_31:
	s_endpgm
	.section	.rodata,"a",@progbits
	.p2align	6, 0x0
	.amdhsa_kernel bluestein_single_fwd_len2000_dim1_dp_op_CI_CI
		.amdhsa_group_segment_fixed_size 32000
		.amdhsa_private_segment_fixed_size 588
		.amdhsa_kernarg_size 104
		.amdhsa_user_sgpr_count 6
		.amdhsa_user_sgpr_private_segment_buffer 1
		.amdhsa_user_sgpr_dispatch_ptr 0
		.amdhsa_user_sgpr_queue_ptr 0
		.amdhsa_user_sgpr_kernarg_segment_ptr 1
		.amdhsa_user_sgpr_dispatch_id 0
		.amdhsa_user_sgpr_flat_scratch_init 0
		.amdhsa_user_sgpr_private_segment_size 0
		.amdhsa_wavefront_size32 1
		.amdhsa_uses_dynamic_stack 0
		.amdhsa_system_sgpr_private_segment_wavefront_offset 1
		.amdhsa_system_sgpr_workgroup_id_x 1
		.amdhsa_system_sgpr_workgroup_id_y 0
		.amdhsa_system_sgpr_workgroup_id_z 0
		.amdhsa_system_sgpr_workgroup_info 0
		.amdhsa_system_vgpr_workitem_id 0
		.amdhsa_next_free_vgpr 256
		.amdhsa_next_free_sgpr 24
		.amdhsa_reserve_vcc 1
		.amdhsa_reserve_flat_scratch 0
		.amdhsa_float_round_mode_32 0
		.amdhsa_float_round_mode_16_64 0
		.amdhsa_float_denorm_mode_32 3
		.amdhsa_float_denorm_mode_16_64 3
		.amdhsa_dx10_clamp 1
		.amdhsa_ieee_mode 1
		.amdhsa_fp16_overflow 0
		.amdhsa_workgroup_processor_mode 1
		.amdhsa_memory_ordered 1
		.amdhsa_forward_progress 0
		.amdhsa_shared_vgpr_count 0
		.amdhsa_exception_fp_ieee_invalid_op 0
		.amdhsa_exception_fp_denorm_src 0
		.amdhsa_exception_fp_ieee_div_zero 0
		.amdhsa_exception_fp_ieee_overflow 0
		.amdhsa_exception_fp_ieee_underflow 0
		.amdhsa_exception_fp_ieee_inexact 0
		.amdhsa_exception_int_div_zero 0
	.end_amdhsa_kernel
	.text
.Lfunc_end0:
	.size	bluestein_single_fwd_len2000_dim1_dp_op_CI_CI, .Lfunc_end0-bluestein_single_fwd_len2000_dim1_dp_op_CI_CI
                                        ; -- End function
	.section	.AMDGPU.csdata,"",@progbits
; Kernel info:
; codeLenInByte = 29244
; NumSgprs: 26
; NumVgprs: 256
; ScratchSize: 588
; MemoryBound: 0
; FloatMode: 240
; IeeeMode: 1
; LDSByteSize: 32000 bytes/workgroup (compile time only)
; SGPRBlocks: 3
; VGPRBlocks: 31
; NumSGPRsForWavesPerEU: 26
; NumVGPRsForWavesPerEU: 256
; Occupancy: 4
; WaveLimiterHint : 1
; COMPUTE_PGM_RSRC2:SCRATCH_EN: 1
; COMPUTE_PGM_RSRC2:USER_SGPR: 6
; COMPUTE_PGM_RSRC2:TRAP_HANDLER: 0
; COMPUTE_PGM_RSRC2:TGID_X_EN: 1
; COMPUTE_PGM_RSRC2:TGID_Y_EN: 0
; COMPUTE_PGM_RSRC2:TGID_Z_EN: 0
; COMPUTE_PGM_RSRC2:TIDIG_COMP_CNT: 0
	.text
	.p2alignl 6, 3214868480
	.fill 48, 4, 3214868480
	.type	__hip_cuid_1f509dd2f3305264,@object ; @__hip_cuid_1f509dd2f3305264
	.section	.bss,"aw",@nobits
	.globl	__hip_cuid_1f509dd2f3305264
__hip_cuid_1f509dd2f3305264:
	.byte	0                               ; 0x0
	.size	__hip_cuid_1f509dd2f3305264, 1

	.ident	"AMD clang version 19.0.0git (https://github.com/RadeonOpenCompute/llvm-project roc-6.4.0 25133 c7fe45cf4b819c5991fe208aaa96edf142730f1d)"
	.section	".note.GNU-stack","",@progbits
	.addrsig
	.addrsig_sym __hip_cuid_1f509dd2f3305264
	.amdgpu_metadata
---
amdhsa.kernels:
  - .args:
      - .actual_access:  read_only
        .address_space:  global
        .offset:         0
        .size:           8
        .value_kind:     global_buffer
      - .actual_access:  read_only
        .address_space:  global
        .offset:         8
        .size:           8
        .value_kind:     global_buffer
      - .actual_access:  read_only
        .address_space:  global
        .offset:         16
        .size:           8
        .value_kind:     global_buffer
      - .actual_access:  read_only
        .address_space:  global
        .offset:         24
        .size:           8
        .value_kind:     global_buffer
      - .actual_access:  read_only
        .address_space:  global
        .offset:         32
        .size:           8
        .value_kind:     global_buffer
      - .offset:         40
        .size:           8
        .value_kind:     by_value
      - .address_space:  global
        .offset:         48
        .size:           8
        .value_kind:     global_buffer
      - .address_space:  global
        .offset:         56
        .size:           8
        .value_kind:     global_buffer
      - .address_space:  global
        .offset:         64
        .size:           8
        .value_kind:     global_buffer
      - .address_space:  global
        .offset:         72
        .size:           8
        .value_kind:     global_buffer
      - .offset:         80
        .size:           4
        .value_kind:     by_value
      - .address_space:  global
        .offset:         88
        .size:           8
        .value_kind:     global_buffer
      - .address_space:  global
        .offset:         96
        .size:           8
        .value_kind:     global_buffer
    .group_segment_fixed_size: 32000
    .kernarg_segment_align: 8
    .kernarg_segment_size: 104
    .language:       OpenCL C
    .language_version:
      - 2
      - 0
    .max_flat_workgroup_size: 125
    .name:           bluestein_single_fwd_len2000_dim1_dp_op_CI_CI
    .private_segment_fixed_size: 588
    .sgpr_count:     26
    .sgpr_spill_count: 0
    .symbol:         bluestein_single_fwd_len2000_dim1_dp_op_CI_CI.kd
    .uniform_work_group_size: 1
    .uses_dynamic_stack: false
    .vgpr_count:     256
    .vgpr_spill_count: 146
    .wavefront_size: 32
    .workgroup_processor_mode: 1
amdhsa.target:   amdgcn-amd-amdhsa--gfx1030
amdhsa.version:
  - 1
  - 2
...

	.end_amdgpu_metadata
